;; amdgpu-corpus repo=ROCm/rocm-libraries kind=compiled arch=gfx1100 opt=O3
	.text
	.amdgcn_target "amdgcn-amd-amdhsa--gfx1100"
	.amdhsa_code_object_version 6
	.protected	naive_conv_nonpacked_fwd_nchw_half_half_half ; -- Begin function naive_conv_nonpacked_fwd_nchw_half_half_half
	.globl	naive_conv_nonpacked_fwd_nchw_half_half_half
	.p2align	8
	.type	naive_conv_nonpacked_fwd_nchw_half_half_half,@function
naive_conv_nonpacked_fwd_nchw_half_half_half: ; @naive_conv_nonpacked_fwd_nchw_half_half_half
; %bb.0:
	s_load_b512 s[16:31], s[0:1], 0x18
	s_mov_b32 s33, 0
	s_waitcnt lgkmcnt(0)
	s_abs_i32 s2, s19
	s_mul_i32 s8, s19, s18
	v_cvt_f32_u32_e32 v1, s2
	s_sub_i32 s4, 0, s2
	s_mul_i32 s14, s22, s21
	s_delay_alu instid0(VALU_DEP_1) | instskip(SKIP_2) | instid1(VALU_DEP_1)
	v_rcp_iflag_f32_e32 v1, v1
	s_waitcnt_depctr 0xfff
	v_mul_f32_e32 v1, 0x4f7ffffe, v1
	v_cvt_u32_f32_e32 v1, v1
	s_delay_alu instid0(VALU_DEP_1) | instskip(NEXT) | instid1(VALU_DEP_1)
	v_readfirstlane_b32 s3, v1
	s_mul_i32 s4, s4, s3
	s_delay_alu instid0(SALU_CYCLE_1) | instskip(SKIP_2) | instid1(SALU_CYCLE_1)
	s_mul_hi_u32 s5, s3, s4
	s_abs_i32 s4, s15
	s_add_i32 s3, s3, s5
	s_mul_hi_u32 s3, s4, s3
	s_delay_alu instid0(SALU_CYCLE_1) | instskip(SKIP_2) | instid1(SALU_CYCLE_1)
	s_mul_i32 s5, s3, s2
	s_add_i32 s6, s3, 1
	s_sub_i32 s5, s4, s5
	s_sub_i32 s7, s5, s2
	s_cmp_ge_u32 s5, s2
	s_cselect_b32 s3, s6, s3
	s_cselect_b32 s5, s7, s5
	s_add_i32 s6, s3, 1
	s_cmp_ge_u32 s5, s2
	s_mov_b32 s2, exec_lo
	s_cselect_b32 s7, s6, s3
	s_abs_i32 s6, s18
	s_abs_i32 s5, s8
	v_cvt_f32_u32_e32 v1, s6
	v_cvt_f32_u32_e32 v2, s5
	s_delay_alu instid0(VALU_DEP_2) | instskip(NEXT) | instid1(VALU_DEP_1)
	v_rcp_iflag_f32_e32 v1, v1
	v_rcp_iflag_f32_e32 v2, v2
	s_waitcnt_depctr 0xfff
	v_dual_mul_f32 v1, 0x4f7ffffe, v1 :: v_dual_mul_f32 v2, 0x4f7ffffe, v2
	s_delay_alu instid0(VALU_DEP_1) | instskip(NEXT) | instid1(VALU_DEP_2)
	v_cvt_u32_f32_e32 v1, v1
	v_cvt_u32_f32_e32 v2, v2
	s_delay_alu instid0(VALU_DEP_2) | instskip(NEXT) | instid1(VALU_DEP_2)
	v_readfirstlane_b32 s9, v1
	v_readfirstlane_b32 s10, v2
	v_cmpx_gt_i32_e64 s14, v0
	s_cbranch_execz .LBB0_51
; %bb.1:
	s_load_b64 s[2:3], s[0:1], 0x58
	s_ashr_i32 s11, s15, 31
	s_ashr_i32 s12, s19, 31
	s_sub_i32 s13, 0, s6
	s_xor_b32 s12, s11, s12
	s_mul_i32 s13, s13, s9
	s_xor_b32 s7, s7, s12
	s_sub_i32 s18, 0, s5
	s_mul_hi_u32 s13, s9, s13
	s_sub_i32 s7, s7, s12
	s_mul_i32 s18, s18, s10
	s_add_i32 s9, s9, s13
	s_abs_i32 s13, s7
	s_mul_hi_u32 s18, s10, s18
	s_mul_hi_u32 s9, s13, s9
	s_ashr_i32 s8, s8, 31
	s_add_i32 s10, s10, s18
	s_ashr_i32 s12, s7, 31
	s_mul_i32 s7, s7, s19
	s_mul_i32 s9, s9, s6
	s_waitcnt lgkmcnt(0)
	s_bitcmp1_b32 s2, 0
	s_mul_i32 s37, s31, s19
	s_cselect_b32 s2, -1, 0
	s_sub_i32 s18, s15, s7
	s_sub_i32 s7, s13, s9
	s_xor_b32 s42, s2, -1
	s_sub_i32 s9, s7, s6
	s_cmp_ge_u32 s7, s6
	s_mov_b32 s53, s16
	s_cselect_b32 s7, s9, s7
	s_mul_hi_u32 s9, s4, s10
	s_sub_i32 s10, s7, s6
	s_cmp_ge_u32 s7, s6
	s_mul_i32 s6, s9, s5
	s_cselect_b32 s7, s10, s7
	s_sub_i32 s4, s4, s6
	s_xor_b32 s7, s7, s12
	s_xor_b32 s8, s11, s8
	s_sub_i32 s12, s7, s12
	s_add_i32 s6, s9, 1
	s_sub_i32 s7, s4, s5
	s_cmp_ge_u32 s4, s5
	s_mov_b32 s54, s17
	s_cselect_b32 s6, s6, s9
	s_cselect_b32 s4, s7, s4
	s_add_i32 s7, s6, 1
	s_cmp_ge_u32 s4, s5
	s_mul_i32 s5, s31, s20
	s_cselect_b32 s4, s7, s6
	s_mul_hi_i32 s9, s12, s5
	s_xor_b32 s4, s4, s8
	s_ashr_i32 s43, s16, 31
	s_sub_i32 s13, s4, s8
	s_mul_i32 s8, s12, s5
	s_load_b128 s[4:7], s[0:1], 0x0
	s_mul_i32 s10, s13, s20
	s_ashr_i32 s44, s17, 31
	s_ashr_i32 s34, s20, 31
	s_mul_hi_i32 s11, s13, s20
	s_add_u32 s35, s10, s8
	s_addc_u32 s36, s11, s9
	s_mul_i32 s8, s17, s16
	s_mul_hi_i32 s11, s17, s16
	s_mul_i32 s9, s8, s36
	s_mul_hi_u32 s10, s8, s35
	s_mul_i32 s11, s11, s35
	s_add_i32 s9, s10, s9
	s_mul_i32 s8, s8, s35
	s_add_i32 s9, s9, s11
	s_load_b64 s[10:11], s[0:1], 0x10
	s_lshl_b64 s[8:9], s[8:9], 1
	s_mul_i32 s36, s36, s17
	s_mov_b32 s55, s29
	v_mov_b32_e32 v8, v0
	s_waitcnt lgkmcnt(0)
	s_add_u32 s45, s4, s8
	s_mul_hi_i32 s8, s13, s19
	s_mul_i32 s13, s13, s19
	s_addc_u32 s46, s5, s9
	s_ashr_i32 s31, s30, 31
	s_ashr_i32 s9, s18, 31
	s_add_u32 s13, s13, s18
	s_addc_u32 s18, s8, s9
	s_mul_hi_i32 s8, s12, s37
	s_mul_i32 s12, s12, s37
	s_ashr_i32 s47, s22, 31
	s_add_u32 s12, s13, s12
	s_addc_u32 s8, s18, s8
	s_mul_hi_u32 s9, s14, s12
	s_mul_i32 s8, s14, s8
	s_mul_hi_i32 s19, s22, s21
	s_add_i32 s8, s9, s8
	s_mul_i32 s19, s19, s12
	s_delay_alu instid0(SALU_CYCLE_1) | instskip(SKIP_3) | instid1(SALU_CYCLE_1)
	s_add_i32 s9, s8, s19
	s_mul_i32 s8, s14, s12
	s_mul_i32 s19, s35, s17
	s_lshl_b64 s[8:9], s[8:9], 1
	s_add_u32 s21, s10, s8
	s_addc_u32 s48, s11, s9
	s_cmp_gt_i32 s20, 0
	s_mul_i32 s10, s35, s44
	s_cselect_b32 s49, -1, 0
	s_cmp_gt_i32 s29, 0
	s_mul_hi_u32 s11, s35, s17
	s_cselect_b32 s50, -1, 0
	s_cmp_gt_i32 s30, 0
	s_cselect_b32 s51, -1, 0
	s_add_u32 s8, s0, 0x60
	s_addc_u32 s9, s1, 0
	s_abs_i32 s52, s22
	s_add_i32 s10, s11, s10
	v_cvt_f32_u32_e32 v1, s52
	s_sub_i32 s12, 0, s52
	s_mul_hi_u32 s11, s19, s16
	s_add_i32 s10, s10, s36
	s_mul_i32 s0, s30, s29
	v_rcp_iflag_f32_e32 v1, v1
	s_mul_hi_i32 s1, s30, s29
	s_waitcnt_depctr 0xfff
	v_mul_f32_e32 v1, 0x4f7ffffe, v1
	s_delay_alu instid0(VALU_DEP_1) | instskip(NEXT) | instid1(VALU_DEP_1)
	v_cvt_u32_f32_e32 v1, v1
	v_mul_lo_u32 v2, s12, v1
	s_mul_i32 s12, s19, s43
	s_delay_alu instid0(SALU_CYCLE_1)
	s_add_i32 s11, s11, s12
	s_mul_i32 s12, s10, s16
	s_mul_i32 s10, s19, s16
	s_add_i32 s11, s11, s12
	s_mul_hi_u32 s12, s0, s13
	s_lshl_b64 s[10:11], s[10:11], 1
	s_mul_i32 s16, s0, s18
	s_add_u32 s4, s4, s10
	v_mul_hi_u32 v2, v1, v2
	s_addc_u32 s5, s5, s11
	s_add_i32 s10, s12, s16
	s_mul_i32 s11, s0, s13
	s_mul_i32 s12, s1, s13
	;; [unrolled: 1-line block ×3, first 2 shown]
	s_mul_hi_u32 s16, s11, s20
	s_add_i32 s10, s10, s12
	s_add_i32 s12, s16, s13
	s_mul_i32 s10, s10, s20
	v_add_nc_u32_e32 v7, v1, v2
	s_add_i32 s13, s12, s10
	s_mul_i32 s12, s11, s20
	v_mov_b32_e32 v2, 0
	s_lshl_b64 s[10:11], s[0:1], 1
	s_lshl_b64 s[0:1], s[12:13], 1
	s_lshl_b64 s[12:13], s[30:31], 1
	s_add_u32 s6, s6, s0
	s_addc_u32 s7, s7, s1
	s_branch .LBB0_4
.LBB0_2:                                ;   in Loop: Header=BB0_4 Depth=1
	v_mov_b32_e32 v4, 0
	v_mov_b32_e32 v5, 0
.LBB0_3:                                ;   in Loop: Header=BB0_4 Depth=1
	s_delay_alu instid0(VALU_DEP_1) | instskip(SKIP_3) | instid1(VALU_DEP_4)
	v_and_or_b32 v1, 0x1ff, v5, v4
	v_lshrrev_b32_e32 v4, 8, v5
	v_bfe_u32 v6, v5, 20, 11
	v_add_nc_u32_e32 v8, 0x100, v8
	v_cmp_ne_u32_e32 vcc_lo, 0, v1
	s_delay_alu instid0(VALU_DEP_3) | instskip(SKIP_2) | instid1(VALU_DEP_1)
	v_sub_nc_u32_e32 v10, 0x3f1, v6
	v_add_nc_u32_e32 v12, 0xfffffc10, v6
	v_cndmask_b32_e64 v1, 0, 1, vcc_lo
	v_and_or_b32 v1, 0xffe, v4, v1
	s_delay_alu instid0(VALU_DEP_4) | instskip(NEXT) | instid1(VALU_DEP_2)
	v_med3_i32 v4, v10, 0, 13
	v_or_b32_e32 v10, 0x1000, v1
	v_lshl_or_b32 v6, v12, 12, v1
	v_cmp_ne_u32_e64 s1, 0, v1
	s_delay_alu instid0(VALU_DEP_3) | instskip(NEXT) | instid1(VALU_DEP_2)
	v_lshrrev_b32_e32 v11, v4, v10
	v_cndmask_b32_e64 v1, 0, 1, s1
	s_delay_alu instid0(VALU_DEP_2) | instskip(NEXT) | instid1(VALU_DEP_2)
	v_lshlrev_b32_e32 v4, v4, v11
	v_lshl_or_b32 v1, v1, 9, 0x7c00
	s_delay_alu instid0(VALU_DEP_2) | instskip(SKIP_2) | instid1(VALU_DEP_2)
	v_cmp_ne_u32_e32 vcc_lo, v4, v10
	v_cndmask_b32_e64 v4, 0, 1, vcc_lo
	v_cmp_gt_i32_e32 vcc_lo, 1, v12
	v_or_b32_e32 v4, v11, v4
	v_mad_i64_i32 v[10:11], null, v9, s22, 0
	v_lshrrev_b32_e32 v9, 16, v5
	s_delay_alu instid0(VALU_DEP_3) | instskip(NEXT) | instid1(VALU_DEP_1)
	v_cndmask_b32_e32 v6, v6, v4, vcc_lo
	v_and_b32_e32 v4, 7, v6
	v_lshrrev_b32_e32 v6, 2, v6
	s_delay_alu instid0(VALU_DEP_2) | instskip(SKIP_2) | instid1(VALU_DEP_2)
	v_cmp_lt_i32_e32 vcc_lo, 5, v4
	v_cmp_eq_u32_e64 s0, 3, v4
	v_mov_b32_e32 v4, v2
	s_or_b32 vcc_lo, s0, vcc_lo
	v_cmp_eq_u32_e64 s0, 0x40f, v12
	v_add_co_ci_u32_e32 v6, vcc_lo, 0, v6, vcc_lo
	v_cmp_gt_i32_e32 vcc_lo, 31, v12
	v_lshlrev_b64 v[3:4], 1, v[3:4]
	s_delay_alu instid0(VALU_DEP_3) | instskip(SKIP_2) | instid1(VALU_DEP_3)
	v_cndmask_b32_e32 v13, 0x7c00, v6, vcc_lo
	v_lshlrev_b64 v[5:6], 1, v[10:11]
	v_cmp_le_i32_e32 vcc_lo, s14, v8
	v_cndmask_b32_e64 v1, v13, v1, s0
	s_delay_alu instid0(VALU_DEP_3) | instskip(NEXT) | instid1(VALU_DEP_1)
	v_add_co_u32 v5, s0, s21, v5
	v_add_co_ci_u32_e64 v6, s0, s48, v6, s0
	s_delay_alu instid0(VALU_DEP_3) | instskip(NEXT) | instid1(VALU_DEP_3)
	v_and_or_b32 v1, 0x8000, v9, v1
	v_add_co_u32 v3, s0, v5, v3
	s_delay_alu instid0(VALU_DEP_1)
	v_add_co_ci_u32_e64 v4, s0, v6, v4, s0
	s_or_b32 s33, vcc_lo, s33
	global_store_b16 v[3:4], v1, off
	s_and_not1_b32 exec_lo, exec_lo, s33
	s_cbranch_execz .LBB0_51
.LBB0_4:                                ; =>This Loop Header: Depth=1
                                        ;     Child Loop BB0_7 Depth 2
                                        ;       Child Loop BB0_10 Depth 3
                                        ;         Child Loop BB0_14 Depth 4
	v_mul_hi_u32 v1, v8, v7
	s_delay_alu instid0(VALU_DEP_1) | instskip(SKIP_1) | instid1(VALU_DEP_2)
	v_mul_lo_u32 v3, v1, s52
	v_add_nc_u32_e32 v4, 1, v1
	v_sub_nc_u32_e32 v3, v8, v3
	s_delay_alu instid0(VALU_DEP_1) | instskip(SKIP_1) | instid1(VALU_DEP_4)
	v_subrev_nc_u32_e32 v5, s52, v3
	v_cmp_le_u32_e32 vcc_lo, s52, v3
	v_cndmask_b32_e32 v1, v1, v4, vcc_lo
	s_delay_alu instid0(VALU_DEP_3) | instskip(NEXT) | instid1(VALU_DEP_2)
	v_cndmask_b32_e32 v3, v3, v5, vcc_lo
	v_add_nc_u32_e32 v4, 1, v1
	s_delay_alu instid0(VALU_DEP_2) | instskip(NEXT) | instid1(VALU_DEP_2)
	v_cmp_le_u32_e32 vcc_lo, s52, v3
	v_cndmask_b32_e32 v1, v1, v4, vcc_lo
	s_and_not1_b32 vcc_lo, exec_lo, s49
	s_delay_alu instid0(VALU_DEP_1) | instskip(NEXT) | instid1(VALU_DEP_1)
	v_xor_b32_e32 v1, s47, v1
	v_subrev_nc_u32_e32 v9, s47, v1
	s_delay_alu instid0(VALU_DEP_1) | instskip(NEXT) | instid1(VALU_DEP_1)
	v_mul_lo_u32 v1, v9, s22
	v_sub_nc_u32_e32 v3, v8, v1
	s_cbranch_vccnz .LBB0_2
; %bb.5:                                ;   in Loop: Header=BB0_4 Depth=1
	v_mul_lo_u32 v1, v9, s23
	s_delay_alu instid0(VALU_DEP_2)
	v_mul_lo_u32 v10, v3, s24
	v_mov_b32_e32 v4, 0
	v_mov_b32_e32 v5, 0
	s_mov_b32 s29, 0
	s_mov_b64 s[16:17], s[6:7]
	s_mov_b64 s[18:19], s[4:5]
	s_delay_alu instid0(VALU_DEP_4) | instskip(NEXT) | instid1(VALU_DEP_4)
	v_subrev_nc_u32_e32 v6, s27, v1
	v_subrev_nc_u32_e32 v10, s28, v10
	s_branch .LBB0_7
.LBB0_6:                                ;   in Loop: Header=BB0_7 Depth=2
	s_add_i32 s29, s29, 1
	s_add_u32 s18, s18, s10
	s_addc_u32 s19, s19, s11
	s_add_u32 s16, s16, s10
	s_addc_u32 s17, s17, s11
	s_cmp_eq_u32 s29, s20
	s_cbranch_scc1 .LBB0_3
.LBB0_7:                                ;   Parent Loop BB0_4 Depth=1
                                        ; =>  This Loop Header: Depth=2
                                        ;       Child Loop BB0_10 Depth 3
                                        ;         Child Loop BB0_14 Depth 4
	s_and_not1_b32 vcc_lo, exec_lo, s50
	s_cbranch_vccnz .LBB0_6
; %bb.8:                                ;   in Loop: Header=BB0_7 Depth=2
	s_mul_i32 s0, s29, s43
	s_mul_hi_u32 s1, s29, s53
	s_mul_i32 s56, s29, s53
	s_add_i32 s31, s1, s0
	s_mov_b32 s57, 0
	s_mov_b64 s[34:35], s[16:17]
	s_mov_b64 s[36:37], s[18:19]
	s_branch .LBB0_10
.LBB0_9:                                ;   in Loop: Header=BB0_10 Depth=3
	s_add_i32 s57, s57, 1
	s_add_u32 s36, s36, s12
	s_addc_u32 s37, s37, s13
	s_add_u32 s34, s34, s12
	s_addc_u32 s35, s35, s13
	s_cmp_eq_u32 s57, s55
	s_cbranch_scc1 .LBB0_6
.LBB0_10:                               ;   Parent Loop BB0_4 Depth=1
                                        ;     Parent Loop BB0_7 Depth=2
                                        ; =>    This Loop Header: Depth=3
                                        ;         Child Loop BB0_14 Depth 4
	s_and_not1_b32 vcc_lo, exec_lo, s51
	s_cbranch_vccnz .LBB0_9
; %bb.11:                               ;   in Loop: Header=BB0_10 Depth=3
	v_mad_u64_u32 v[11:12], null, s57, s25, v[6:7]
	s_mov_b64 s[38:39], s[34:35]
	s_mov_b64 s[40:41], s[36:37]
	s_mov_b32 s59, s30
	s_delay_alu instid0(VALU_DEP_1) | instskip(NEXT) | instid1(VALU_DEP_1)
	v_add_co_u32 v1, s0, s56, v11
	v_add_co_ci_u32_e64 v12, null, s31, 0, s0
	v_cmp_gt_i32_e32 vcc_lo, 0, v11
	s_delay_alu instid0(VALU_DEP_3) | instskip(SKIP_1) | instid1(VALU_DEP_4)
	v_mul_lo_u32 v15, v1, s44
	v_cmp_le_i32_e64 s0, s53, v11
	v_mul_lo_u32 v14, v12, s54
	v_mad_u64_u32 v[12:13], null, v1, s54, 0
	v_mov_b32_e32 v1, v10
	s_delay_alu instid0(VALU_DEP_4) | instskip(NEXT) | instid1(VALU_DEP_2)
	s_or_b32 s58, vcc_lo, s0
	v_add3_u32 v13, v13, v15, v14
	s_delay_alu instid0(VALU_DEP_1) | instskip(NEXT) | instid1(VALU_DEP_1)
	v_lshlrev_b64 v[11:12], 1, v[12:13]
	v_add_co_u32 v11, vcc_lo, s45, v11
	s_delay_alu instid0(VALU_DEP_2)
	v_add_co_ci_u32_e32 v12, vcc_lo, s46, v12, vcc_lo
	s_branch .LBB0_14
.LBB0_12:                               ;   in Loop: Header=BB0_14 Depth=4
	s_or_b32 exec_lo, exec_lo, s1
	v_cvt_f64_f32_e32 v[15:16], v15
	s_delay_alu instid0(VALU_DEP_2) | instskip(NEXT) | instid1(VALU_DEP_1)
	v_cvt_f64_f32_e32 v[13:14], v14
	v_fma_f64 v[4:5], v[15:16], v[13:14], v[4:5]
.LBB0_13:                               ;   in Loop: Header=BB0_14 Depth=4
	s_or_b32 exec_lo, exec_lo, s60
	s_add_i32 s59, s59, -1
	s_add_u32 s40, s40, 2
	s_addc_u32 s41, s41, 0
	v_add_nc_u32_e32 v1, s26, v1
	s_add_u32 s38, s38, 2
	s_addc_u32 s39, s39, 0
	s_cmp_eq_u32 s59, 0
	s_cbranch_scc1 .LBB0_9
.LBB0_14:                               ;   Parent Loop BB0_4 Depth=1
                                        ;     Parent Loop BB0_7 Depth=2
                                        ;       Parent Loop BB0_10 Depth=3
                                        ; =>      This Inner Loop Header: Depth=4
	v_cmp_gt_i32_e32 vcc_lo, 0, v1
	v_cmp_le_i32_e64 s0, s54, v1
	s_delay_alu instid0(VALU_DEP_1) | instskip(NEXT) | instid1(SALU_CYCLE_1)
	s_or_b32 s0, vcc_lo, s0
	s_or_b32 s0, s58, s0
	s_delay_alu instid0(SALU_CYCLE_1) | instskip(NEXT) | instid1(SALU_CYCLE_1)
	s_xor_b32 s0, s0, -1
	s_and_saveexec_b32 s60, s0
	s_cbranch_execz .LBB0_13
; %bb.15:                               ;   in Loop: Header=BB0_14 Depth=4
	v_lshlrev_b64 v[13:14], 1, v[1:2]
	s_delay_alu instid0(VALU_DEP_1) | instskip(NEXT) | instid1(VALU_DEP_2)
	v_add_co_u32 v13, vcc_lo, v11, v13
	v_add_co_ci_u32_e32 v14, vcc_lo, v12, v14, vcc_lo
	s_and_not1_b32 vcc_lo, exec_lo, s42
	global_load_u16 v16, v[13:14], off
	s_cbranch_vccnz .LBB0_30
; %bb.16:                               ;   in Loop: Header=BB0_14 Depth=4
	s_mov_b32 s1, 0
	s_delay_alu instid0(SALU_CYCLE_1)
	v_mov_b32_e32 v17, s1
	v_mov_b32_e32 v15, s1
	s_cbranch_execnz .LBB0_18
.LBB0_17:                               ;   in Loop: Header=BB0_14 Depth=4
	global_load_u16 v13, v2, s[40:41]
	s_load_b32 s0, s[8:9], 0xc
	s_waitcnt vmcnt(1)
	v_lshrrev_b32_e32 v15, 5, v16
	s_waitcnt lgkmcnt(0)
	s_and_b32 s0, s0, 0xffff
	s_waitcnt vmcnt(0)
	v_lshrrev_b32_e32 v17, 5, v13
	v_mad_u64_u32 v[13:14], null, s15, s0, v[0:1]
	v_mul_lo_u32 v14, 0x7000149, v15
	s_delay_alu instid0(VALU_DEP_3) | instskip(NEXT) | instid1(VALU_DEP_3)
	v_mul_lo_u32 v15, 0x7000149, v17
	v_mul_lo_u32 v13, 0x3819f, v13
	s_delay_alu instid0(VALU_DEP_3) | instskip(NEXT) | instid1(VALU_DEP_3)
	v_xor_b32_e32 v14, s3, v14
	v_xor_b32_e32 v15, s3, v15
	s_delay_alu instid0(VALU_DEP_2) | instskip(NEXT) | instid1(VALU_DEP_2)
	v_xor3_b32 v17, v14, v13, 0x13371337
	v_xor3_b32 v15, 0x13371337, v15, v13
.LBB0_18:                               ;   in Loop: Header=BB0_14 Depth=4
	s_waitcnt vmcnt(0)
	v_and_b32_e32 v14, 0x7c00, v16
	v_mov_b32_e32 v13, 0x80
	s_delay_alu instid0(VALU_DEP_2)
	v_cmp_ne_u32_e32 vcc_lo, 0x7c00, v14
	v_mov_b32_e32 v14, 0x80
	s_and_saveexec_b32 s61, vcc_lo
	s_cbranch_execz .LBB0_26
; %bb.19:                               ;   in Loop: Header=BB0_14 Depth=4
	v_mov_b32_e32 v14, 0
	s_mov_b32 s62, exec_lo
	v_cmpx_ne_u16_e32 0, v16
	s_cbranch_execz .LBB0_25
; %bb.20:                               ;   in Loop: Header=BB0_14 Depth=4
	v_bfe_u32 v14, v16, 10, 5
	s_delay_alu instid0(VALU_DEP_1) | instskip(SKIP_1) | instid1(VALU_DEP_2)
	v_sub_nc_u32_e32 v18, 8, v14
	v_cmp_gt_u32_e32 vcc_lo, 9, v14
	v_dual_cndmask_b32 v18, 0, v18 :: v_dual_and_b32 v19, 0x3ff, v16
	v_cmp_eq_u32_e32 vcc_lo, 0, v14
	s_delay_alu instid0(VALU_DEP_2) | instskip(NEXT) | instid1(VALU_DEP_3)
	v_or_b32_e32 v20, 0x400, v19
	v_cndmask_b32_e64 v18, v18, 7, vcc_lo
	s_delay_alu instid0(VALU_DEP_1) | instskip(SKIP_3) | instid1(VALU_DEP_3)
	v_dual_cndmask_b32 v19, v20, v19 :: v_dual_add_nc_u32 v22, 6, v18
	v_max_i32_e32 v20, 0, v18
	v_lshl_add_u32 v21, 0x80, v18, -1
	v_cmp_lt_i32_e64 s0, 3, v18
	v_lshrrev_b32_e32 v20, v20, v19
	s_delay_alu instid0(VALU_DEP_3) | instskip(SKIP_1) | instid1(VALU_DEP_4)
	v_and_b32_e32 v19, v21, v19
	v_lshlrev_b32_e64 v21, v22, 1
	s_or_b32 s0, s0, s2
	s_delay_alu instid0(VALU_DEP_3) | instskip(SKIP_1) | instid1(VALU_DEP_3)
	v_bfe_u32 v22, v20, 7, 1
	v_cndmask_b32_e64 v17, v20, v17, s2
	v_cmp_ne_u32_e64 s1, v19, v21
	s_delay_alu instid0(VALU_DEP_3) | instskip(SKIP_1) | instid1(VALU_DEP_1)
	v_add3_u32 v19, v20, v22, -1
	v_add_nc_u32_e32 v14, -7, v14
	v_cndmask_b32_e64 v14, v14, -6, vcc_lo
	s_delay_alu instid0(VALU_DEP_4) | instskip(SKIP_4) | instid1(VALU_DEP_3)
	s_or_b32 vcc_lo, s0, s1
	s_mov_b32 s0, exec_lo
	v_cndmask_b32_e32 v17, v19, v17, vcc_lo
	v_lshrrev_b32_e32 v19, 10, v20
	v_add_nc_u32_e32 v18, v18, v14
	v_and_b32_e32 v14, 0x7f, v17
	s_delay_alu instid0(VALU_DEP_3) | instskip(NEXT) | instid1(VALU_DEP_2)
	v_xor_b32_e32 v19, 1, v19
	v_add_nc_u32_e32 v17, v14, v20
                                        ; implicit-def: $vgpr14
	s_delay_alu instid0(VALU_DEP_2)
	v_cmpx_ne_u32_e64 v18, v19
	s_xor_b32 s0, exec_lo, s0
; %bb.21:                               ;   in Loop: Header=BB0_14 Depth=4
	s_delay_alu instid0(VALU_DEP_2) | instskip(SKIP_2) | instid1(VALU_DEP_2)
	v_cmp_lt_u32_e32 vcc_lo, 0x7ff, v17
	v_sub_nc_u32_e32 v14, v18, v19
	v_cndmask_b32_e64 v18, 0, 1, vcc_lo
	v_add_co_ci_u32_e32 v14, vcc_lo, 0, v14, vcc_lo
	s_delay_alu instid0(VALU_DEP_2)
	v_lshrrev_b32_e32 v17, v18, v17
; %bb.22:                               ;   in Loop: Header=BB0_14 Depth=4
	s_and_not1_saveexec_b32 s0, s0
; %bb.23:                               ;   in Loop: Header=BB0_14 Depth=4
	s_delay_alu instid0(VALU_DEP_1)
	v_bfe_u32 v14, v17, 10, 1
; %bb.24:                               ;   in Loop: Header=BB0_14 Depth=4
	s_or_b32 exec_lo, exec_lo, s0
	v_lshrrev_b32_e32 v17, 7, v17
	s_delay_alu instid0(VALU_DEP_2) | instskip(SKIP_2) | instid1(VALU_DEP_2)
	v_cmp_gt_i32_e32 vcc_lo, 16, v14
	v_lshrrev_b32_e32 v16, 8, v16
	v_min_i32_e32 v18, 15, v14
	v_dual_cndmask_b32 v17, 7, v17 :: v_dual_and_b32 v16, 0x80, v16
	s_delay_alu instid0(VALU_DEP_2) | instskip(NEXT) | instid1(VALU_DEP_2)
	v_lshlrev_b32_e32 v18, 3, v18
	v_or_b32_e32 v14, v14, v17
	s_delay_alu instid0(VALU_DEP_1) | instskip(SKIP_1) | instid1(VALU_DEP_1)
	v_cmp_ne_u32_e32 vcc_lo, 0, v14
	v_and_b32_e32 v19, 7, v17
	v_or3_b32 v16, v18, v16, v19
	s_delay_alu instid0(VALU_DEP_1)
	v_cndmask_b32_e32 v14, 0, v16, vcc_lo
.LBB0_25:                               ;   in Loop: Header=BB0_14 Depth=4
	s_or_b32 exec_lo, exec_lo, s62
.LBB0_26:                               ;   in Loop: Header=BB0_14 Depth=4
	s_delay_alu instid0(SALU_CYCLE_1) | instskip(SKIP_4) | instid1(VALU_DEP_2)
	s_or_b32 exec_lo, exec_lo, s61
	global_load_u16 v16, v2, s[38:39]
	s_waitcnt vmcnt(0)
	v_and_b32_e32 v17, 0x7c00, v16
	v_readfirstlane_b32 s0, v16
	v_cmp_eq_u32_e32 vcc_lo, 0x7c00, v17
	s_cbranch_vccnz .LBB0_35
; %bb.27:                               ;   in Loop: Header=BB0_14 Depth=4
	s_delay_alu instid0(VALU_DEP_2)
	s_cmp_eq_u32 s0, 0
	s_cbranch_scc1 .LBB0_31
; %bb.28:                               ;   in Loop: Header=BB0_14 Depth=4
	s_bfe_u32 s1, s0, 0x5000a
	s_and_b32 s61, s0, 0x3ff
	s_sub_i32 s62, 8, s1
	s_cmp_lt_u32 s1, 9
	s_cselect_b32 s62, s62, 0
	s_or_b32 s63, s61, 0x400
	s_add_i32 s64, s1, -7
	s_cmp_eq_u32 s1, 0
	s_cselect_b32 s1, 7, s62
	s_cselect_b32 s61, s61, s63
	s_cselect_b32 s62, -6, s64
	s_cmp_gt_i32 s1, 3
	s_cselect_b32 s63, -1, 0
	s_lshl_b32 s64, 0x80, s1
	s_add_i32 s65, s1, 6
	s_add_i32 s64, s64, -1
	s_lshl_b32 s65, 1, s65
	s_and_b32 s64, s64, s61
	s_delay_alu instid0(SALU_CYCLE_1)
	s_cmp_lg_u32 s64, s65
	s_cselect_b32 s64, -1, 0
	s_max_i32 s65, s1, 0
	s_or_b32 s63, s63, s2
	s_lshr_b32 s65, s61, s65
	s_or_b32 vcc_lo, s63, s64
	s_bfe_u32 s61, s65, 0x10007
	v_cndmask_b32_e64 v13, s65, v15, s2
	s_add_i32 s61, s65, s61
	s_add_i32 s1, s1, s62
	s_add_i32 s61, s61, -1
	s_delay_alu instid0(VALU_DEP_1) | instid1(SALU_CYCLE_1)
	v_cndmask_b32_e32 v13, s61, v13, vcc_lo
	s_lshr_b32 s61, s65, 10
	s_delay_alu instid0(SALU_CYCLE_1) | instskip(NEXT) | instid1(VALU_DEP_1)
	s_xor_b32 s61, s61, 1
	v_and_b32_e32 v13, 0x7f, v13
	s_cmp_lg_u32 s1, s61
	s_delay_alu instid0(VALU_DEP_1)
	v_add_nc_u32_e32 v15, s65, v13
	s_cbranch_scc0 .LBB0_32
; %bb.29:                               ;   in Loop: Header=BB0_14 Depth=4
	s_delay_alu instid0(VALU_DEP_1) | instskip(SKIP_3) | instid1(VALU_DEP_2)
	v_cmp_lt_u32_e32 vcc_lo, 0x7ff, v15
	s_sub_i32 s1, s1, s61
	v_cndmask_b32_e64 v16, 0, 1, vcc_lo
	v_add_co_ci_u32_e64 v13, null, s1, 0, vcc_lo
	v_lshrrev_b32_e32 v16, v16, v15
	s_cbranch_execz .LBB0_33
	s_branch .LBB0_34
.LBB0_30:                               ;   in Loop: Header=BB0_14 Depth=4
                                        ; implicit-def: $sgpr1
	v_mov_b32_e32 v17, s1
	v_mov_b32_e32 v15, s1
	s_branch .LBB0_17
.LBB0_31:                               ;   in Loop: Header=BB0_14 Depth=4
	v_mov_b32_e32 v13, 0
	s_branch .LBB0_35
.LBB0_32:                               ;   in Loop: Header=BB0_14 Depth=4
                                        ; implicit-def: $vgpr16
                                        ; implicit-def: $vgpr13
.LBB0_33:                               ;   in Loop: Header=BB0_14 Depth=4
	s_delay_alu instid0(VALU_DEP_1)
	v_bfe_u32 v13, v15, 10, 1
	v_mov_b32_e32 v16, v15
.LBB0_34:                               ;   in Loop: Header=BB0_14 Depth=4
	s_delay_alu instid0(VALU_DEP_1) | instskip(NEXT) | instid1(VALU_DEP_3)
	v_lshrrev_b32_e32 v15, 7, v16
	v_cmp_gt_i32_e32 vcc_lo, 16, v13
	v_min_i32_e32 v16, 15, v13
	s_lshr_b32 s0, s0, 8
	s_delay_alu instid0(SALU_CYCLE_1) | instskip(NEXT) | instid1(VALU_DEP_1)
	s_and_b32 s0, s0, 0x80
	v_dual_cndmask_b32 v15, 7, v15 :: v_dual_lshlrev_b32 v16, 3, v16
	s_delay_alu instid0(VALU_DEP_1) | instskip(SKIP_1) | instid1(VALU_DEP_2)
	v_and_b32_e32 v17, 7, v15
	v_or_b32_e32 v13, v13, v15
	v_or3_b32 v15, v16, s0, v17
	s_delay_alu instid0(VALU_DEP_2) | instskip(NEXT) | instid1(VALU_DEP_2)
	v_cmp_ne_u32_e32 vcc_lo, 0, v13
	v_cndmask_b32_e32 v13, 0, v15, vcc_lo
.LBB0_35:                               ;   in Loop: Header=BB0_14 Depth=4
	v_and_b32_e32 v16, 0xff, v14
	s_mov_b32 s0, 0
	s_mov_b32 s61, exec_lo
                                        ; implicit-def: $sgpr1
	s_delay_alu instid0(VALU_DEP_1)
	v_cmpx_lt_i16_e32 0x7f, v16
	s_xor_b32 s61, exec_lo, s61
	s_cbranch_execnz .LBB0_42
; %bb.36:                               ;   in Loop: Header=BB0_14 Depth=4
	s_or_saveexec_b32 s61, s61
	v_mov_b32_e32 v15, s1
	s_xor_b32 exec_lo, exec_lo, s61
	s_cbranch_execnz .LBB0_45
.LBB0_37:                               ;   in Loop: Header=BB0_14 Depth=4
	s_or_b32 exec_lo, exec_lo, s61
	s_and_saveexec_b32 s1, s0
	s_cbranch_execz .LBB0_39
.LBB0_38:                               ;   in Loop: Header=BB0_14 Depth=4
	v_lshrrev_b16 v18, 3, v14
	s_delay_alu instid0(VALU_DEP_1) | instskip(NEXT) | instid1(VALU_DEP_1)
	v_and_b32_e32 v18, 15, v18
	v_cmp_eq_u32_e32 vcc_lo, 0, v18
	v_and_b32_e32 v15, 7, v14
	s_delay_alu instid0(VALU_DEP_1) | instskip(NEXT) | instid1(VALU_DEP_1)
	v_clz_i32_u32_e32 v16, v15
	v_subrev_nc_u32_e32 v17, 28, v16
	v_sub_nc_u32_e32 v16, 29, v16
	s_delay_alu instid0(VALU_DEP_1) | instskip(SKIP_1) | instid1(VALU_DEP_2)
	v_dual_cndmask_b32 v16, v18, v16 :: v_dual_lshlrev_b32 v17, v17, v14
	v_lshlrev_b32_e32 v14, 24, v14
	v_and_b32_e32 v17, 7, v17
	s_delay_alu instid0(VALU_DEP_3) | instskip(NEXT) | instid1(VALU_DEP_2)
	v_lshl_add_u32 v16, v16, 23, 0x3b800000
	v_dual_cndmask_b32 v15, v15, v17 :: v_dual_and_b32 v14, 0x80000000, v14
	s_delay_alu instid0(VALU_DEP_1) | instskip(NEXT) | instid1(VALU_DEP_1)
	v_lshlrev_b32_e32 v15, 20, v15
	v_or3_b32 v15, v14, v16, v15
.LBB0_39:                               ;   in Loop: Header=BB0_14 Depth=4
	s_or_b32 exec_lo, exec_lo, s1
	v_and_b32_e32 v16, 0xff, v13
	s_mov_b32 s0, 0
	s_mov_b32 s61, exec_lo
                                        ; implicit-def: $sgpr1
	s_delay_alu instid0(VALU_DEP_1)
	v_cmpx_lt_i16_e32 0x7f, v16
	s_xor_b32 s61, exec_lo, s61
	s_cbranch_execnz .LBB0_46
; %bb.40:                               ;   in Loop: Header=BB0_14 Depth=4
	s_or_saveexec_b32 s61, s61
	v_mov_b32_e32 v14, s1
	s_xor_b32 exec_lo, exec_lo, s61
	s_cbranch_execnz .LBB0_49
.LBB0_41:                               ;   in Loop: Header=BB0_14 Depth=4
	s_or_b32 exec_lo, exec_lo, s61
	s_and_saveexec_b32 s1, s0
	s_cbranch_execz .LBB0_12
	s_branch .LBB0_50
.LBB0_42:                               ;   in Loop: Header=BB0_14 Depth=4
	s_mov_b32 s0, -1
	s_mov_b32 s62, exec_lo
                                        ; implicit-def: $sgpr1
	v_cmpx_eq_u16_e32 0x80, v16
; %bb.43:                               ;   in Loop: Header=BB0_14 Depth=4
	s_mov_b32 s1, 0x7f800001
	s_xor_b32 s0, exec_lo, -1
; %bb.44:                               ;   in Loop: Header=BB0_14 Depth=4
	s_or_b32 exec_lo, exec_lo, s62
	s_delay_alu instid0(SALU_CYCLE_1)
	s_and_b32 s0, s0, exec_lo
                                        ; implicit-def: $vgpr16
	s_or_saveexec_b32 s61, s61
	v_mov_b32_e32 v15, s1
	s_xor_b32 exec_lo, exec_lo, s61
	s_cbranch_execz .LBB0_37
.LBB0_45:                               ;   in Loop: Header=BB0_14 Depth=4
	v_cmp_ne_u16_e32 vcc_lo, 0, v16
	v_mov_b32_e32 v15, 0
	s_and_not1_b32 s0, s0, exec_lo
	s_and_b32 s1, vcc_lo, exec_lo
	s_delay_alu instid0(SALU_CYCLE_1)
	s_or_b32 s0, s0, s1
	s_or_b32 exec_lo, exec_lo, s61
	s_and_saveexec_b32 s1, s0
	s_cbranch_execnz .LBB0_38
	s_branch .LBB0_39
.LBB0_46:                               ;   in Loop: Header=BB0_14 Depth=4
	s_mov_b32 s0, -1
	s_mov_b32 s62, exec_lo
                                        ; implicit-def: $sgpr1
	v_cmpx_eq_u16_e32 0x80, v16
; %bb.47:                               ;   in Loop: Header=BB0_14 Depth=4
	s_mov_b32 s1, 0x7f800001
	s_xor_b32 s0, exec_lo, -1
; %bb.48:                               ;   in Loop: Header=BB0_14 Depth=4
	s_or_b32 exec_lo, exec_lo, s62
	s_delay_alu instid0(SALU_CYCLE_1)
	s_and_b32 s0, s0, exec_lo
                                        ; implicit-def: $vgpr16
	s_or_saveexec_b32 s61, s61
	v_mov_b32_e32 v14, s1
	s_xor_b32 exec_lo, exec_lo, s61
	s_cbranch_execz .LBB0_41
.LBB0_49:                               ;   in Loop: Header=BB0_14 Depth=4
	v_cmp_ne_u16_e32 vcc_lo, 0, v16
	v_mov_b32_e32 v14, 0
	s_and_not1_b32 s0, s0, exec_lo
	s_and_b32 s1, vcc_lo, exec_lo
	s_delay_alu instid0(SALU_CYCLE_1)
	s_or_b32 s0, s0, s1
	s_or_b32 exec_lo, exec_lo, s61
	s_and_saveexec_b32 s1, s0
	s_cbranch_execz .LBB0_12
.LBB0_50:                               ;   in Loop: Header=BB0_14 Depth=4
	v_and_b32_e32 v14, 7, v13
	v_lshrrev_b16 v18, 3, v13
	s_delay_alu instid0(VALU_DEP_2) | instskip(NEXT) | instid1(VALU_DEP_2)
	v_clz_i32_u32_e32 v16, v14
	v_and_b32_e32 v18, 15, v18
	s_delay_alu instid0(VALU_DEP_2) | instskip(SKIP_1) | instid1(VALU_DEP_3)
	v_subrev_nc_u32_e32 v17, 28, v16
	v_sub_nc_u32_e32 v16, 29, v16
	v_cmp_eq_u32_e32 vcc_lo, 0, v18
	s_delay_alu instid0(VALU_DEP_3) | instskip(NEXT) | instid1(VALU_DEP_3)
	v_lshlrev_b32_e32 v17, v17, v13
	v_dual_cndmask_b32 v16, v18, v16 :: v_dual_lshlrev_b32 v13, 24, v13
	s_delay_alu instid0(VALU_DEP_2) | instskip(NEXT) | instid1(VALU_DEP_2)
	v_and_b32_e32 v17, 7, v17
	v_and_b32_e32 v13, 0x80000000, v13
	s_delay_alu instid0(VALU_DEP_3) | instskip(NEXT) | instid1(VALU_DEP_3)
	v_lshl_add_u32 v16, v16, 23, 0x3b800000
	v_cndmask_b32_e32 v14, v14, v17, vcc_lo
	s_delay_alu instid0(VALU_DEP_1) | instskip(NEXT) | instid1(VALU_DEP_1)
	v_lshlrev_b32_e32 v14, 20, v14
	v_or3_b32 v14, v13, v16, v14
	s_branch .LBB0_12
.LBB0_51:
	s_nop 0
	s_sendmsg sendmsg(MSG_DEALLOC_VGPRS)
	s_endpgm
	.section	.rodata,"a",@progbits
	.p2align	6, 0x0
	.amdhsa_kernel naive_conv_nonpacked_fwd_nchw_half_half_half
		.amdhsa_group_segment_fixed_size 0
		.amdhsa_private_segment_fixed_size 0
		.amdhsa_kernarg_size 352
		.amdhsa_user_sgpr_count 15
		.amdhsa_user_sgpr_dispatch_ptr 0
		.amdhsa_user_sgpr_queue_ptr 0
		.amdhsa_user_sgpr_kernarg_segment_ptr 1
		.amdhsa_user_sgpr_dispatch_id 0
		.amdhsa_user_sgpr_private_segment_size 0
		.amdhsa_wavefront_size32 1
		.amdhsa_uses_dynamic_stack 0
		.amdhsa_enable_private_segment 0
		.amdhsa_system_sgpr_workgroup_id_x 1
		.amdhsa_system_sgpr_workgroup_id_y 0
		.amdhsa_system_sgpr_workgroup_id_z 0
		.amdhsa_system_sgpr_workgroup_info 0
		.amdhsa_system_vgpr_workitem_id 0
		.amdhsa_next_free_vgpr 23
		.amdhsa_next_free_sgpr 66
		.amdhsa_reserve_vcc 1
		.amdhsa_float_round_mode_32 0
		.amdhsa_float_round_mode_16_64 0
		.amdhsa_float_denorm_mode_32 3
		.amdhsa_float_denorm_mode_16_64 3
		.amdhsa_dx10_clamp 1
		.amdhsa_ieee_mode 1
		.amdhsa_fp16_overflow 0
		.amdhsa_workgroup_processor_mode 1
		.amdhsa_memory_ordered 1
		.amdhsa_forward_progress 0
		.amdhsa_shared_vgpr_count 0
		.amdhsa_exception_fp_ieee_invalid_op 0
		.amdhsa_exception_fp_denorm_src 0
		.amdhsa_exception_fp_ieee_div_zero 0
		.amdhsa_exception_fp_ieee_overflow 0
		.amdhsa_exception_fp_ieee_underflow 0
		.amdhsa_exception_fp_ieee_inexact 0
		.amdhsa_exception_int_div_zero 0
	.end_amdhsa_kernel
	.text
.Lfunc_end0:
	.size	naive_conv_nonpacked_fwd_nchw_half_half_half, .Lfunc_end0-naive_conv_nonpacked_fwd_nchw_half_half_half
                                        ; -- End function
	.section	.AMDGPU.csdata,"",@progbits
; Kernel info:
; codeLenInByte = 3300
; NumSgprs: 68
; NumVgprs: 23
; ScratchSize: 0
; MemoryBound: 0
; FloatMode: 240
; IeeeMode: 1
; LDSByteSize: 0 bytes/workgroup (compile time only)
; SGPRBlocks: 8
; VGPRBlocks: 2
; NumSGPRsForWavesPerEU: 68
; NumVGPRsForWavesPerEU: 23
; Occupancy: 16
; WaveLimiterHint : 0
; COMPUTE_PGM_RSRC2:SCRATCH_EN: 0
; COMPUTE_PGM_RSRC2:USER_SGPR: 15
; COMPUTE_PGM_RSRC2:TRAP_HANDLER: 0
; COMPUTE_PGM_RSRC2:TGID_X_EN: 1
; COMPUTE_PGM_RSRC2:TGID_Y_EN: 0
; COMPUTE_PGM_RSRC2:TGID_Z_EN: 0
; COMPUTE_PGM_RSRC2:TIDIG_COMP_CNT: 0
	.text
	.protected	naive_conv_nonpacked_bwd_nchw_half_half_half ; -- Begin function naive_conv_nonpacked_bwd_nchw_half_half_half
	.globl	naive_conv_nonpacked_bwd_nchw_half_half_half
	.p2align	8
	.type	naive_conv_nonpacked_bwd_nchw_half_half_half,@function
naive_conv_nonpacked_bwd_nchw_half_half_half: ; @naive_conv_nonpacked_bwd_nchw_half_half_half
; %bb.0:
	s_load_b512 s[16:31], s[0:1], 0x18
	s_waitcnt lgkmcnt(0)
	s_abs_i32 s2, s20
	s_mul_i32 s8, s20, s18
	v_cvt_f32_u32_e32 v1, s2
	s_sub_i32 s4, 0, s2
	s_mul_i32 s14, s17, s16
	s_delay_alu instid0(VALU_DEP_1) | instskip(SKIP_2) | instid1(VALU_DEP_1)
	v_rcp_iflag_f32_e32 v1, v1
	s_waitcnt_depctr 0xfff
	v_mul_f32_e32 v1, 0x4f7ffffe, v1
	v_cvt_u32_f32_e32 v1, v1
	s_delay_alu instid0(VALU_DEP_1) | instskip(NEXT) | instid1(VALU_DEP_1)
	v_readfirstlane_b32 s3, v1
	s_mul_i32 s4, s4, s3
	s_delay_alu instid0(SALU_CYCLE_1) | instskip(SKIP_2) | instid1(SALU_CYCLE_1)
	s_mul_hi_u32 s5, s3, s4
	s_abs_i32 s4, s15
	s_add_i32 s3, s3, s5
	s_mul_hi_u32 s3, s4, s3
	s_delay_alu instid0(SALU_CYCLE_1) | instskip(SKIP_2) | instid1(SALU_CYCLE_1)
	s_mul_i32 s5, s3, s2
	s_add_i32 s6, s3, 1
	s_sub_i32 s5, s4, s5
	s_sub_i32 s7, s5, s2
	s_cmp_ge_u32 s5, s2
	s_cselect_b32 s3, s6, s3
	s_cselect_b32 s5, s7, s5
	s_add_i32 s6, s3, 1
	s_cmp_ge_u32 s5, s2
	s_mov_b32 s2, exec_lo
	s_cselect_b32 s7, s6, s3
	s_abs_i32 s6, s18
	s_abs_i32 s5, s8
	v_cvt_f32_u32_e32 v1, s6
	v_cvt_f32_u32_e32 v2, s5
	s_mov_b32 s18, 0
	s_delay_alu instid0(VALU_DEP_2) | instskip(NEXT) | instid1(VALU_DEP_1)
	v_rcp_iflag_f32_e32 v1, v1
	v_rcp_iflag_f32_e32 v2, v2
	s_waitcnt_depctr 0xfff
	v_dual_mul_f32 v1, 0x4f7ffffe, v1 :: v_dual_mul_f32 v2, 0x4f7ffffe, v2
	s_delay_alu instid0(VALU_DEP_1) | instskip(NEXT) | instid1(VALU_DEP_2)
	v_cvt_u32_f32_e32 v1, v1
	v_cvt_u32_f32_e32 v2, v2
	s_delay_alu instid0(VALU_DEP_2) | instskip(NEXT) | instid1(VALU_DEP_2)
	v_readfirstlane_b32 s9, v1
	v_readfirstlane_b32 s10, v2
	v_cmpx_gt_i32_e64 s14, v0
	s_cbranch_execz .LBB1_63
; %bb.1:
	s_load_b64 s[2:3], s[0:1], 0x58
	s_ashr_i32 s11, s15, 31
	s_ashr_i32 s12, s20, 31
	s_sub_i32 s13, 0, s6
	s_sub_i32 s33, 0, s5
	s_xor_b32 s34, s11, s12
	s_mul_i32 s13, s13, s9
	s_mul_i32 s33, s33, s10
	s_xor_b32 s7, s7, s34
	s_mul_hi_u32 s13, s9, s13
	s_mul_hi_u32 s33, s10, s33
	s_sub_i32 s7, s7, s34
	s_add_i32 s9, s9, s13
	s_add_i32 s10, s10, s33
	s_abs_i32 s33, s7
	s_ashr_i32 s8, s8, 31
	s_mul_hi_u32 s9, s33, s9
	s_ashr_i32 s13, s7, 31
	s_mul_i32 s7, s7, s20
	s_mul_i32 s9, s9, s6
	s_waitcnt lgkmcnt(0)
	s_bitcmp1_b32 s2, 0
	s_mov_b32 s47, s17
	s_cselect_b32 s2, -1, 0
	s_sub_i32 s50, s15, s7
	s_sub_i32 s7, s33, s9
	s_xor_b32 s33, s2, -1
	s_sub_i32 s9, s7, s6
	s_cmp_ge_u32 s7, s6
	s_mov_b32 s48, s29
	s_cselect_b32 s7, s9, s7
	s_mul_hi_u32 s9, s4, s10
	s_sub_i32 s10, s7, s6
	s_cmp_ge_u32 s7, s6
	s_mul_i32 s6, s9, s5
	s_cselect_b32 s7, s10, s7
	s_sub_i32 s4, s4, s6
	s_xor_b32 s7, s7, s13
	s_xor_b32 s8, s11, s8
	s_sub_i32 s13, s7, s13
	s_add_i32 s6, s9, 1
	s_sub_i32 s7, s4, s5
	s_cmp_ge_u32 s4, s5
	s_mov_b32 s49, s21
	s_cselect_b32 s6, s6, s9
	s_cselect_b32 s4, s7, s4
	s_add_i32 s7, s6, 1
	s_cmp_ge_u32 s4, s5
	s_mul_i32 s5, s31, s20
	s_cselect_b32 s4, s7, s6
	s_mul_hi_i32 s9, s13, s5
	s_xor_b32 s4, s4, s8
	s_ashr_i32 s34, s17, 31
	s_sub_i32 s37, s4, s8
	s_mul_i32 s8, s13, s5
	s_load_b128 s[4:7], s[0:1], 0x0
	s_ashr_i32 s51, s50, 31
	s_mul_i32 s11, s37, s20
	s_add_u32 s8, s8, s50
	s_mul_hi_i32 s10, s37, s20
	s_addc_u32 s9, s9, s51
	s_add_u32 s8, s8, s11
	s_addc_u32 s9, s9, s10
	s_mul_hi_u32 s10, s14, s8
	s_mul_i32 s9, s14, s9
	s_mul_hi_i32 s11, s17, s16
	s_add_i32 s9, s10, s9
	s_mul_i32 s11, s11, s8
	s_mul_i32 s8, s14, s8
	s_add_i32 s9, s9, s11
	s_load_b64 s[10:11], s[0:1], 0x10
	s_lshl_b64 s[8:9], s[8:9], 1
	s_mul_i32 s16, s31, s19
	v_mov_b32_e32 v10, v0
	s_waitcnt lgkmcnt(0)
	s_add_u32 s35, s4, s8
	s_mul_i32 s8, s37, s19
	s_addc_u32 s36, s5, s9
	s_mul_i32 s4, s8, s12
	s_mul_hi_u32 s5, s8, s20
	s_mul_hi_i32 s9, s37, s19
	s_add_i32 s4, s5, s4
	s_mul_i32 s5, s9, s20
	s_ashr_i32 s31, s30, 31
	s_add_i32 s52, s4, s5
	s_mul_hi_i32 s4, s13, s16
	s_mul_i32 s13, s13, s16
	s_ashr_i32 s37, s21, 31
	s_ashr_i32 s38, s22, 31
	s_add_u32 s13, s8, s13
	s_addc_u32 s4, s9, s4
	s_mul_i32 s9, s22, s21
	s_mul_hi_i32 s16, s22, s21
	s_mul_i32 s4, s9, s4
	s_mul_hi_u32 s5, s9, s13
	s_mul_i32 s16, s16, s13
	s_add_i32 s4, s5, s4
	s_mul_i32 s8, s8, s20
	s_add_i32 s5, s4, s16
	s_mul_i32 s4, s9, s13
	s_mul_i32 s9, s30, s29
	s_lshl_b64 s[4:5], s[4:5], 1
	s_delay_alu instid0(SALU_CYCLE_1)
	s_add_u32 s39, s10, s4
	s_addc_u32 s40, s11, s5
	s_cmp_gt_i32 s19, 0
	s_mul_hi_i32 s10, s30, s29
	s_cselect_b32 s41, -1, 0
	s_cmp_gt_i32 s29, 0
	s_cselect_b32 s42, -1, 0
	s_cmp_gt_i32 s30, 0
	s_cselect_b32 s43, -1, 0
	s_add_u32 s4, s0, 0x60
	s_addc_u32 s5, s1, 0
	s_abs_i32 s44, s17
	s_abs_i32 s45, s23
	v_cvt_f32_u32_e32 v1, s44
	v_cvt_f32_u32_e32 v2, s45
	s_abs_i32 s46, s24
	s_sub_i32 s0, 0, s44
	v_cvt_f32_u32_e32 v3, s46
	v_rcp_iflag_f32_e32 v1, v1
	v_rcp_iflag_f32_e32 v2, v2
	s_ashr_i32 s23, s23, 31
	s_ashr_i32 s24, s24, 31
	v_rcp_iflag_f32_e32 v3, v3
	s_waitcnt_depctr 0xfff
	v_dual_mul_f32 v1, 0x4f7ffffe, v1 :: v_dual_mul_f32 v2, 0x4f7ffffe, v2
	s_delay_alu instid0(VALU_DEP_1) | instskip(NEXT) | instid1(VALU_DEP_2)
	v_cvt_u32_f32_e32 v1, v1
	v_cvt_u32_f32_e32 v2, v2
	s_delay_alu instid0(VALU_DEP_2)
	v_mul_lo_u32 v4, s0, v1
	s_sub_i32 s0, 0, s45
	s_delay_alu instid0(VALU_DEP_2) | instid1(SALU_CYCLE_1)
	v_mul_lo_u32 v5, s0, v2
	s_sub_i32 s0, 0, s46
	s_add_u32 s8, s8, s50
	s_addc_u32 s1, s52, s51
	s_delay_alu instid0(VALU_DEP_2) | instskip(NEXT) | instid1(VALU_DEP_2)
	v_mul_hi_u32 v4, v1, v4
	v_mul_hi_u32 v5, v2, v5
	v_mul_f32_e32 v3, 0x4f7ffffe, v3
	s_delay_alu instid0(VALU_DEP_3) | instskip(NEXT) | instid1(VALU_DEP_3)
	v_add_nc_u32_e32 v7, v1, v4
	v_add_nc_u32_e32 v8, v2, v5
	v_mov_b32_e32 v2, 0
	s_delay_alu instid0(VALU_DEP_4) | instskip(NEXT) | instid1(VALU_DEP_1)
	v_cvt_u32_f32_e32 v3, v3
	v_mul_lo_u32 v6, s0, v3
	s_mul_i32 s0, s9, s1
	s_mul_hi_u32 s1, s9, s8
	s_delay_alu instid0(SALU_CYCLE_1) | instskip(SKIP_3) | instid1(VALU_DEP_1)
	s_add_i32 s0, s1, s0
	s_mul_i32 s1, s10, s8
	s_mul_i32 s10, s10, s20
	s_add_i32 s1, s0, s1
	v_mul_hi_u32 v1, v3, v6
	s_mul_i32 s0, s9, s8
	s_mul_hi_u32 s8, s9, s20
	s_lshl_b64 s[0:1], s[0:1], 1
	s_delay_alu instid0(SALU_CYCLE_1)
	s_add_u32 s6, s6, s0
	s_mul_i32 s0, s9, s12
	s_addc_u32 s7, s7, s1
	s_add_i32 s0, s8, s0
	v_add_nc_u32_e32 v9, v3, v1
	s_add_i32 s1, s0, s10
	s_mul_i32 s0, s9, s20
	s_lshl_b64 s[10:11], s[30:31], 1
	s_lshl_b64 s[8:9], s[0:1], 1
	s_branch .LBB1_4
.LBB1_2:                                ;   in Loop: Header=BB1_4 Depth=1
	v_mov_b32_e32 v3, 0
	v_mov_b32_e32 v4, 0
.LBB1_3:                                ;   in Loop: Header=BB1_4 Depth=1
	s_delay_alu instid0(VALU_DEP_1) | instskip(SKIP_3) | instid1(VALU_DEP_4)
	v_and_or_b32 v3, 0x1ff, v4, v3
	v_lshrrev_b32_e32 v5, 8, v4
	v_bfe_u32 v6, v4, 20, 11
	v_add_nc_u32_e32 v10, 0x100, v10
	v_cmp_ne_u32_e32 vcc_lo, 0, v3
	s_delay_alu instid0(VALU_DEP_3) | instskip(SKIP_2) | instid1(VALU_DEP_1)
	v_sub_nc_u32_e32 v12, 0x3f1, v6
	v_add_nc_u32_e32 v14, 0xfffffc10, v6
	v_cndmask_b32_e64 v3, 0, 1, vcc_lo
	v_and_or_b32 v3, 0xffe, v5, v3
	s_delay_alu instid0(VALU_DEP_4) | instskip(NEXT) | instid1(VALU_DEP_2)
	v_med3_i32 v5, v12, 0, 13
	v_or_b32_e32 v12, 0x1000, v3
	v_lshl_or_b32 v6, v14, 12, v3
	v_cmp_ne_u32_e64 s1, 0, v3
	s_delay_alu instid0(VALU_DEP_3) | instskip(NEXT) | instid1(VALU_DEP_2)
	v_lshrrev_b32_e32 v13, v5, v12
	v_cndmask_b32_e64 v3, 0, 1, s1
	s_delay_alu instid0(VALU_DEP_2) | instskip(NEXT) | instid1(VALU_DEP_1)
	v_lshlrev_b32_e32 v5, v5, v13
	v_cmp_ne_u32_e32 vcc_lo, v5, v12
	v_cndmask_b32_e64 v5, 0, 1, vcc_lo
	v_cmp_gt_i32_e32 vcc_lo, 1, v14
	s_delay_alu instid0(VALU_DEP_2) | instskip(SKIP_1) | instid1(VALU_DEP_2)
	v_or_b32_e32 v5, v13, v5
	v_lshl_or_b32 v13, v3, 9, 0x7c00
	v_cndmask_b32_e32 v12, v6, v5, vcc_lo
	s_delay_alu instid0(VALU_DEP_1) | instskip(NEXT) | instid1(VALU_DEP_1)
	v_and_b32_e32 v5, 7, v12
	v_cmp_lt_i32_e32 vcc_lo, 5, v5
	v_cmp_eq_u32_e64 s0, 3, v5
	v_mad_i64_i32 v[5:6], null, v11, s47, 0
	v_lshrrev_b32_e32 v11, 2, v12
	v_lshrrev_b32_e32 v12, 16, v4
	s_delay_alu instid0(VALU_DEP_4) | instskip(SKIP_1) | instid1(VALU_DEP_3)
	s_or_b32 vcc_lo, s0, vcc_lo
	v_cmp_eq_u32_e64 s0, 0x40f, v14
	v_add_co_ci_u32_e32 v11, vcc_lo, 0, v11, vcc_lo
	v_cmp_gt_i32_e32 vcc_lo, 31, v14
	v_lshlrev_b64 v[3:4], 1, v[5:6]
	v_lshlrev_b64 v[5:6], 1, v[1:2]
	s_delay_alu instid0(VALU_DEP_4) | instskip(SKIP_1) | instid1(VALU_DEP_2)
	v_cndmask_b32_e32 v11, 0x7c00, v11, vcc_lo
	v_cmp_le_i32_e32 vcc_lo, s14, v10
	v_cndmask_b32_e64 v1, v11, v13, s0
	v_add_co_u32 v3, s0, s35, v3
	s_delay_alu instid0(VALU_DEP_1) | instskip(NEXT) | instid1(VALU_DEP_3)
	v_add_co_ci_u32_e64 v4, s0, s36, v4, s0
	v_and_or_b32 v1, 0x8000, v12, v1
	s_delay_alu instid0(VALU_DEP_3) | instskip(NEXT) | instid1(VALU_DEP_1)
	v_add_co_u32 v3, s0, v3, v5
	v_add_co_ci_u32_e64 v4, s0, v4, v6, s0
	s_or_b32 s18, vcc_lo, s18
	global_store_b16 v[3:4], v1, off
	s_and_not1_b32 exec_lo, exec_lo, s18
	s_cbranch_execz .LBB1_63
.LBB1_4:                                ; =>This Loop Header: Depth=1
                                        ;     Child Loop BB1_7 Depth 2
                                        ;       Child Loop BB1_10 Depth 3
                                        ;         Child Loop BB1_20 Depth 4
	v_mul_hi_u32 v1, v10, v7
	s_delay_alu instid0(VALU_DEP_1) | instskip(SKIP_1) | instid1(VALU_DEP_2)
	v_mul_lo_u32 v3, v1, s44
	v_add_nc_u32_e32 v4, 1, v1
	v_sub_nc_u32_e32 v3, v10, v3
	s_delay_alu instid0(VALU_DEP_1) | instskip(SKIP_1) | instid1(VALU_DEP_4)
	v_subrev_nc_u32_e32 v5, s44, v3
	v_cmp_le_u32_e32 vcc_lo, s44, v3
	v_cndmask_b32_e32 v1, v1, v4, vcc_lo
	s_delay_alu instid0(VALU_DEP_3) | instskip(NEXT) | instid1(VALU_DEP_2)
	v_cndmask_b32_e32 v3, v3, v5, vcc_lo
	v_add_nc_u32_e32 v4, 1, v1
	s_delay_alu instid0(VALU_DEP_2) | instskip(NEXT) | instid1(VALU_DEP_2)
	v_cmp_le_u32_e32 vcc_lo, s44, v3
	v_cndmask_b32_e32 v1, v1, v4, vcc_lo
	s_and_not1_b32 vcc_lo, exec_lo, s41
	s_delay_alu instid0(VALU_DEP_1) | instskip(NEXT) | instid1(VALU_DEP_1)
	v_xor_b32_e32 v1, s34, v1
	v_subrev_nc_u32_e32 v11, s34, v1
	s_delay_alu instid0(VALU_DEP_1) | instskip(NEXT) | instid1(VALU_DEP_1)
	v_mul_lo_u32 v1, v11, s47
	v_sub_nc_u32_e32 v1, v10, v1
	s_cbranch_vccnz .LBB1_2
; %bb.5:                                ;   in Loop: Header=BB1_4 Depth=1
	v_dual_mov_b32 v3, 0 :: v_dual_add_nc_u32 v12, s27, v11
	s_delay_alu instid0(VALU_DEP_2)
	v_dual_mov_b32 v4, 0 :: v_dual_add_nc_u32 v13, s28, v1
	s_mov_b32 s29, 0
	s_mov_b64 s[12:13], s[6:7]
	s_branch .LBB1_7
.LBB1_6:                                ;   in Loop: Header=BB1_7 Depth=2
	s_add_i32 s29, s29, 1
	s_add_u32 s12, s12, s8
	s_addc_u32 s13, s13, s9
	s_cmp_eq_u32 s29, s19
	s_cbranch_scc1 .LBB1_3
.LBB1_7:                                ;   Parent Loop BB1_4 Depth=1
                                        ; =>  This Loop Header: Depth=2
                                        ;       Child Loop BB1_10 Depth 3
                                        ;         Child Loop BB1_20 Depth 4
	s_and_not1_b32 vcc_lo, exec_lo, s42
	s_cbranch_vccnz .LBB1_6
; %bb.8:                                ;   in Loop: Header=BB1_7 Depth=2
	s_mul_i32 s0, s29, s37
	s_mul_hi_u32 s1, s29, s49
	s_mul_i32 s50, s29, s49
	s_add_i32 s31, s1, s0
	s_mov_b32 s51, 0
	s_mov_b64 s[16:17], s[12:13]
	s_branch .LBB1_10
.LBB1_9:                                ;   in Loop: Header=BB1_10 Depth=3
	s_add_i32 s51, s51, 1
	s_add_u32 s16, s16, s10
	s_addc_u32 s17, s17, s11
	s_cmp_eq_u32 s51, s48
	s_cbranch_scc1 .LBB1_6
.LBB1_10:                               ;   Parent Loop BB1_4 Depth=1
                                        ;     Parent Loop BB1_7 Depth=2
                                        ; =>    This Loop Header: Depth=3
                                        ;         Child Loop BB1_20 Depth 4
	s_mul_i32 s0, s51, s25
	s_mov_b32 s20, exec_lo
	v_subrev_nc_u32_e32 v16, s0, v12
	s_mov_b32 s0, 0
                                        ; implicit-def: $sgpr1
                                        ; implicit-def: $vgpr14
                                        ; implicit-def: $vgpr5
                                        ; implicit-def: $vgpr6
                                        ; implicit-def: $vgpr15
	s_delay_alu instid0(VALU_DEP_1)
	v_cmpx_lt_i32_e32 -1, v16
	s_xor_b32 s20, exec_lo, s20
	s_cbranch_execnz .LBB1_14
; %bb.11:                               ;   in Loop: Header=BB1_10 Depth=3
	s_and_not1_saveexec_b32 s20, s20
	s_cbranch_execnz .LBB1_15
.LBB1_12:                               ;   in Loop: Header=BB1_10 Depth=3
	s_or_b32 exec_lo, exec_lo, s20
	v_mov_b32_e32 v16, s1
	s_and_saveexec_b32 s1, s0
	s_cbranch_execnz .LBB1_16
.LBB1_13:                               ;   in Loop: Header=BB1_10 Depth=3
	s_or_b32 exec_lo, exec_lo, s1
	s_delay_alu instid0(SALU_CYCLE_1)
	s_and_not1_b32 vcc_lo, exec_lo, s43
	s_cbranch_vccz .LBB1_17
	s_branch .LBB1_9
.LBB1_14:                               ;   in Loop: Header=BB1_10 Depth=3
	v_sub_nc_u32_e32 v5, 0, v16
	s_mov_b32 s1, 1
	s_delay_alu instid0(VALU_DEP_1) | instskip(NEXT) | instid1(VALU_DEP_1)
	v_max_i32_e32 v6, v16, v5
	v_mul_hi_u32 v5, v6, v8
	s_delay_alu instid0(VALU_DEP_1) | instskip(NEXT) | instid1(VALU_DEP_1)
	v_mul_lo_u32 v14, v5, s45
	v_sub_nc_u32_e32 v6, v6, v14
	v_ashrrev_i32_e32 v14, 31, v16
	s_delay_alu instid0(VALU_DEP_2) | instskip(SKIP_1) | instid1(VALU_DEP_2)
	v_subrev_nc_u32_e32 v15, s45, v6
	v_cmp_le_u32_e32 vcc_lo, s45, v6
	v_cndmask_b32_e32 v17, v6, v15, vcc_lo
	s_delay_alu instid0(VALU_DEP_1) | instskip(SKIP_1) | instid1(VALU_DEP_2)
	v_subrev_nc_u32_e32 v18, s45, v17
	v_cmp_le_u32_e32 vcc_lo, s45, v17
	v_cndmask_b32_e32 v16, v17, v18, vcc_lo
	s_delay_alu instid0(VALU_DEP_1) | instskip(NEXT) | instid1(VALU_DEP_1)
	v_xor_b32_e32 v16, v16, v14
	v_sub_nc_u32_e32 v16, v16, v14
	s_delay_alu instid0(VALU_DEP_1)
	v_cmp_ne_u32_e32 vcc_lo, 0, v16
                                        ; implicit-def: $vgpr16
	s_and_b32 s0, vcc_lo, exec_lo
	s_and_not1_saveexec_b32 s20, s20
	s_cbranch_execz .LBB1_12
.LBB1_15:                               ;   in Loop: Header=BB1_10 Depth=3
	v_sub_nc_u32_e32 v5, 0, v16
	s_or_b32 s0, s0, exec_lo
	s_delay_alu instid0(VALU_DEP_1) | instskip(NEXT) | instid1(VALU_DEP_1)
	v_max_i32_e32 v6, v16, v5
	v_mul_hi_u32 v5, v6, v8
	s_delay_alu instid0(VALU_DEP_1) | instskip(NEXT) | instid1(VALU_DEP_1)
	v_mul_lo_u32 v14, v5, s45
	v_sub_nc_u32_e32 v6, v6, v14
	v_ashrrev_i32_e32 v14, 31, v16
	s_delay_alu instid0(VALU_DEP_2)
	v_subrev_nc_u32_e32 v15, s45, v6
	s_or_b32 exec_lo, exec_lo, s20
	v_mov_b32_e32 v16, s1
	s_and_saveexec_b32 s1, s0
	s_cbranch_execz .LBB1_13
.LBB1_16:                               ;   in Loop: Header=BB1_10 Depth=3
	v_mov_b32_e32 v16, 0
	s_or_b32 exec_lo, exec_lo, s1
	s_delay_alu instid0(SALU_CYCLE_1)
	s_and_not1_b32 vcc_lo, exec_lo, s43
	s_cbranch_vccnz .LBB1_9
.LBB1_17:                               ;   in Loop: Header=BB1_10 Depth=3
	v_cmp_le_u32_e32 vcc_lo, s45, v6
	v_add_nc_u32_e32 v17, 1, v5
	v_xor_b32_e32 v14, s23, v14
	s_mov_b64 s[20:21], s[16:17]
	s_mov_b32 s52, s30
	s_delay_alu instid0(VALU_DEP_2) | instskip(NEXT) | instid1(VALU_DEP_1)
	v_dual_cndmask_b32 v6, v6, v15 :: v_dual_cndmask_b32 v5, v5, v17
	v_cmp_le_u32_e32 vcc_lo, s45, v6
	s_delay_alu instid0(VALU_DEP_2) | instskip(NEXT) | instid1(VALU_DEP_1)
	v_add_nc_u32_e32 v15, 1, v5
	v_cndmask_b32_e32 v5, v5, v15, vcc_lo
	s_delay_alu instid0(VALU_DEP_1) | instskip(NEXT) | instid1(VALU_DEP_1)
	v_xor_b32_e32 v5, v5, v14
	v_sub_nc_u32_e32 v14, v5, v14
	s_delay_alu instid0(VALU_DEP_1) | instskip(SKIP_1) | instid1(VALU_DEP_2)
	v_ashrrev_i32_e32 v5, 31, v14
	v_add_co_u32 v15, vcc_lo, s50, v14
	v_add_co_ci_u32_e32 v17, vcc_lo, s31, v5, vcc_lo
	s_delay_alu instid0(VALU_DEP_2) | instskip(SKIP_1) | instid1(VALU_DEP_3)
	v_mul_lo_u32 v18, v15, s38
	v_mad_u64_u32 v[5:6], null, v15, s22, 0
	v_mul_lo_u32 v15, v17, s22
	v_cmp_gt_i32_e32 vcc_lo, s49, v14
	v_dual_mov_b32 v17, v13 :: v_dual_cndmask_b32 v14, 0, v16
	s_delay_alu instid0(VALU_DEP_3) | instskip(NEXT) | instid1(VALU_DEP_1)
	v_add3_u32 v6, v6, v18, v15
	v_lshlrev_b64 v[5:6], 1, v[5:6]
	s_delay_alu instid0(VALU_DEP_1) | instskip(NEXT) | instid1(VALU_DEP_2)
	v_add_co_u32 v15, vcc_lo, s39, v5
	v_add_co_ci_u32_e32 v16, vcc_lo, s40, v6, vcc_lo
	s_branch .LBB1_20
.LBB1_18:                               ;   in Loop: Header=BB1_20 Depth=4
	s_or_b32 exec_lo, exec_lo, s1
	v_cvt_f64_f32_e32 v[18:19], v18
	s_delay_alu instid0(VALU_DEP_2) | instskip(NEXT) | instid1(VALU_DEP_1)
	v_cvt_f64_f32_e32 v[5:6], v6
	v_fma_f64 v[3:4], v[18:19], v[5:6], v[3:4]
.LBB1_19:                               ;   in Loop: Header=BB1_20 Depth=4
	s_or_b32 exec_lo, exec_lo, s53
	v_subrev_nc_u32_e32 v17, s26, v17
	s_add_i32 s52, s52, -1
	s_add_u32 s20, s20, 2
	s_addc_u32 s21, s21, 0
	s_cmp_eq_u32 s52, 0
	s_cbranch_scc1 .LBB1_9
.LBB1_20:                               ;   Parent Loop BB1_4 Depth=1
                                        ;     Parent Loop BB1_7 Depth=2
                                        ;       Parent Loop BB1_10 Depth=3
                                        ; =>      This Inner Loop Header: Depth=4
	v_sub_nc_u32_e32 v20, 0, v17
	s_mov_b32 s0, 0
	s_mov_b32 s53, exec_lo
                                        ; implicit-def: $sgpr1
                                        ; implicit-def: $vgpr18
                                        ; implicit-def: $vgpr5
                                        ; implicit-def: $vgpr6
                                        ; implicit-def: $vgpr19
	v_cmpx_lt_i32_e32 -1, v17
	s_xor_b32 s53, exec_lo, s53
	s_cbranch_execnz .LBB1_40
; %bb.21:                               ;   in Loop: Header=BB1_20 Depth=4
	s_and_not1_saveexec_b32 s53, s53
	s_cbranch_execnz .LBB1_41
.LBB1_22:                               ;   in Loop: Header=BB1_20 Depth=4
	s_or_b32 exec_lo, exec_lo, s53
	v_mov_b32_e32 v20, s1
	s_and_saveexec_b32 s1, s0
.LBB1_23:                               ;   in Loop: Header=BB1_20 Depth=4
	v_mov_b32_e32 v20, 0
.LBB1_24:                               ;   in Loop: Header=BB1_20 Depth=4
	s_or_b32 exec_lo, exec_lo, s1
	v_cmp_le_u32_e32 vcc_lo, s46, v6
	v_add_nc_u32_e32 v21, 1, v5
	v_xor_b32_e32 v18, s24, v18
	s_mov_b32 s53, exec_lo
	s_delay_alu instid0(VALU_DEP_2) | instskip(NEXT) | instid1(VALU_DEP_1)
	v_dual_cndmask_b32 v6, v6, v19 :: v_dual_cndmask_b32 v5, v5, v21
	v_cmp_le_u32_e32 vcc_lo, s46, v6
	s_delay_alu instid0(VALU_DEP_2) | instskip(NEXT) | instid1(VALU_DEP_1)
	v_add_nc_u32_e32 v19, 1, v5
	v_cndmask_b32_e32 v5, v5, v19, vcc_lo
	s_delay_alu instid0(VALU_DEP_1) | instskip(NEXT) | instid1(VALU_DEP_1)
	v_xor_b32_e32 v5, v5, v18
	v_sub_nc_u32_e32 v5, v5, v18
	s_delay_alu instid0(VALU_DEP_1) | instskip(SKIP_1) | instid1(VALU_DEP_1)
	v_cmp_gt_i32_e32 vcc_lo, s22, v5
	v_cndmask_b32_e32 v6, 0, v20, vcc_lo
	v_and_b32_e32 v6, v6, v14
	s_delay_alu instid0(VALU_DEP_1)
	v_cmpx_ne_u32_e32 0, v6
	s_cbranch_execz .LBB1_19
; %bb.25:                               ;   in Loop: Header=BB1_20 Depth=4
	v_ashrrev_i32_e32 v6, 31, v5
	s_delay_alu instid0(VALU_DEP_1) | instskip(NEXT) | instid1(VALU_DEP_1)
	v_lshlrev_b64 v[5:6], 1, v[5:6]
	v_add_co_u32 v5, vcc_lo, v15, v5
	s_delay_alu instid0(VALU_DEP_2)
	v_add_co_ci_u32_e32 v6, vcc_lo, v16, v6, vcc_lo
	s_and_not1_b32 vcc_lo, exec_lo, s33
	global_load_u16 v19, v[5:6], off
	s_cbranch_vccnz .LBB1_42
; %bb.26:                               ;   in Loop: Header=BB1_20 Depth=4
	s_mov_b32 s1, 0
	s_delay_alu instid0(SALU_CYCLE_1)
	v_mov_b32_e32 v20, s1
	v_mov_b32_e32 v18, s1
	s_cbranch_execnz .LBB1_28
.LBB1_27:                               ;   in Loop: Header=BB1_20 Depth=4
	global_load_u16 v5, v2, s[20:21]
	s_load_b32 s0, s[4:5], 0xc
	s_waitcnt vmcnt(1)
	v_lshrrev_b32_e32 v18, 5, v19
	s_waitcnt lgkmcnt(0)
	s_and_b32 s0, s0, 0xffff
	s_waitcnt vmcnt(0)
	v_lshrrev_b32_e32 v20, 5, v5
	v_mad_u64_u32 v[5:6], null, s15, s0, v[0:1]
	v_mul_lo_u32 v6, 0x7000149, v18
	s_delay_alu instid0(VALU_DEP_3) | instskip(NEXT) | instid1(VALU_DEP_3)
	v_mul_lo_u32 v18, 0x7000149, v20
	v_mul_lo_u32 v5, 0x3819f, v5
	s_delay_alu instid0(VALU_DEP_3) | instskip(NEXT) | instid1(VALU_DEP_3)
	v_xor_b32_e32 v6, s3, v6
	v_xor_b32_e32 v18, s3, v18
	s_delay_alu instid0(VALU_DEP_2) | instskip(NEXT) | instid1(VALU_DEP_2)
	v_xor3_b32 v20, v6, v5, 0x13371337
	v_xor3_b32 v18, 0x13371337, v18, v5
.LBB1_28:                               ;   in Loop: Header=BB1_20 Depth=4
	s_waitcnt vmcnt(0)
	v_and_b32_e32 v6, 0x7c00, v19
	v_mov_b32_e32 v5, 0x80
	s_delay_alu instid0(VALU_DEP_2)
	v_cmp_ne_u32_e32 vcc_lo, 0x7c00, v6
	v_mov_b32_e32 v6, 0x80
	s_and_saveexec_b32 s54, vcc_lo
	s_cbranch_execz .LBB1_36
; %bb.29:                               ;   in Loop: Header=BB1_20 Depth=4
	v_mov_b32_e32 v6, 0
	s_mov_b32 s55, exec_lo
	v_cmpx_ne_u16_e32 0, v19
	s_cbranch_execz .LBB1_35
; %bb.30:                               ;   in Loop: Header=BB1_20 Depth=4
	v_bfe_u32 v6, v19, 10, 5
	s_delay_alu instid0(VALU_DEP_1) | instskip(SKIP_1) | instid1(VALU_DEP_2)
	v_sub_nc_u32_e32 v21, 8, v6
	v_cmp_gt_u32_e32 vcc_lo, 9, v6
	v_dual_cndmask_b32 v21, 0, v21 :: v_dual_and_b32 v22, 0x3ff, v19
	v_cmp_eq_u32_e32 vcc_lo, 0, v6
	s_delay_alu instid0(VALU_DEP_2) | instskip(SKIP_1) | instid1(VALU_DEP_4)
	v_or_b32_e32 v23, 0x400, v22
	v_add_nc_u32_e32 v6, -7, v6
	v_cndmask_b32_e64 v21, v21, 7, vcc_lo
	s_delay_alu instid0(VALU_DEP_3) | instskip(NEXT) | instid1(VALU_DEP_3)
	v_cndmask_b32_e32 v22, v23, v22, vcc_lo
	v_cndmask_b32_e64 v6, v6, -6, vcc_lo
	s_delay_alu instid0(VALU_DEP_3) | instskip(SKIP_4) | instid1(VALU_DEP_4)
	v_add_nc_u32_e32 v25, 6, v21
	v_max_i32_e32 v23, 0, v21
	v_lshl_add_u32 v24, 0x80, v21, -1
	v_cmp_lt_i32_e64 s0, 3, v21
	v_add_nc_u32_e32 v21, v21, v6
	v_lshrrev_b32_e32 v23, v23, v22
	s_delay_alu instid0(VALU_DEP_4) | instskip(SKIP_2) | instid1(VALU_DEP_3)
	v_and_b32_e32 v22, v24, v22
	v_lshlrev_b32_e64 v24, v25, 1
	s_or_b32 s0, s0, s2
	v_bfe_u32 v25, v23, 7, 1
	v_cndmask_b32_e64 v20, v23, v20, s2
	s_delay_alu instid0(VALU_DEP_3) | instskip(NEXT) | instid1(VALU_DEP_3)
	v_cmp_ne_u32_e64 s1, v22, v24
	v_add3_u32 v22, v23, v25, -1
	s_delay_alu instid0(VALU_DEP_2) | instskip(SKIP_1) | instid1(VALU_DEP_1)
	s_or_b32 vcc_lo, s0, s1
	s_mov_b32 s0, exec_lo
	v_cndmask_b32_e32 v20, v22, v20, vcc_lo
	v_lshrrev_b32_e32 v22, 10, v23
	s_delay_alu instid0(VALU_DEP_2) | instskip(NEXT) | instid1(VALU_DEP_2)
	v_and_b32_e32 v6, 0x7f, v20
	v_xor_b32_e32 v22, 1, v22
	s_delay_alu instid0(VALU_DEP_2) | instskip(NEXT) | instid1(VALU_DEP_2)
	v_add_nc_u32_e32 v20, v6, v23
                                        ; implicit-def: $vgpr6
	v_cmpx_ne_u32_e64 v21, v22
	s_xor_b32 s0, exec_lo, s0
; %bb.31:                               ;   in Loop: Header=BB1_20 Depth=4
	s_delay_alu instid0(VALU_DEP_2) | instskip(SKIP_2) | instid1(VALU_DEP_2)
	v_cmp_lt_u32_e32 vcc_lo, 0x7ff, v20
	v_sub_nc_u32_e32 v6, v21, v22
	v_cndmask_b32_e64 v21, 0, 1, vcc_lo
	v_add_co_ci_u32_e32 v6, vcc_lo, 0, v6, vcc_lo
	s_delay_alu instid0(VALU_DEP_2)
	v_lshrrev_b32_e32 v20, v21, v20
; %bb.32:                               ;   in Loop: Header=BB1_20 Depth=4
	s_and_not1_saveexec_b32 s0, s0
; %bb.33:                               ;   in Loop: Header=BB1_20 Depth=4
	s_delay_alu instid0(VALU_DEP_1)
	v_bfe_u32 v6, v20, 10, 1
; %bb.34:                               ;   in Loop: Header=BB1_20 Depth=4
	s_or_b32 exec_lo, exec_lo, s0
	v_lshrrev_b32_e32 v20, 7, v20
	s_delay_alu instid0(VALU_DEP_2) | instskip(SKIP_2) | instid1(VALU_DEP_2)
	v_cmp_gt_i32_e32 vcc_lo, 16, v6
	v_lshrrev_b32_e32 v19, 8, v19
	v_min_i32_e32 v21, 15, v6
	v_dual_cndmask_b32 v20, 7, v20 :: v_dual_and_b32 v19, 0x80, v19
	s_delay_alu instid0(VALU_DEP_1) | instskip(SKIP_1) | instid1(VALU_DEP_2)
	v_or_b32_e32 v6, v6, v20
	v_and_b32_e32 v22, 7, v20
	v_cmp_ne_u32_e32 vcc_lo, 0, v6
	v_lshlrev_b32_e32 v21, 3, v21
	s_delay_alu instid0(VALU_DEP_1) | instskip(NEXT) | instid1(VALU_DEP_1)
	v_or3_b32 v19, v21, v19, v22
	v_cndmask_b32_e32 v6, 0, v19, vcc_lo
.LBB1_35:                               ;   in Loop: Header=BB1_20 Depth=4
	s_or_b32 exec_lo, exec_lo, s55
.LBB1_36:                               ;   in Loop: Header=BB1_20 Depth=4
	s_delay_alu instid0(SALU_CYCLE_1) | instskip(SKIP_4) | instid1(VALU_DEP_2)
	s_or_b32 exec_lo, exec_lo, s54
	global_load_u16 v19, v2, s[20:21]
	s_waitcnt vmcnt(0)
	v_and_b32_e32 v20, 0x7c00, v19
	v_readfirstlane_b32 s0, v19
	v_cmp_eq_u32_e32 vcc_lo, 0x7c00, v20
	s_cbranch_vccnz .LBB1_47
; %bb.37:                               ;   in Loop: Header=BB1_20 Depth=4
	s_delay_alu instid0(VALU_DEP_2)
	s_cmp_eq_u32 s0, 0
	s_cbranch_scc1 .LBB1_43
; %bb.38:                               ;   in Loop: Header=BB1_20 Depth=4
	s_bfe_u32 s1, s0, 0x5000a
	s_and_b32 s54, s0, 0x3ff
	s_sub_i32 s55, 8, s1
	s_cmp_lt_u32 s1, 9
	s_cselect_b32 s55, s55, 0
	s_or_b32 s56, s54, 0x400
	s_add_i32 s57, s1, -7
	s_cmp_eq_u32 s1, 0
	s_cselect_b32 s1, 7, s55
	s_cselect_b32 s54, s54, s56
	s_cselect_b32 s55, -6, s57
	s_cmp_gt_i32 s1, 3
	s_cselect_b32 s56, -1, 0
	s_lshl_b32 s57, 0x80, s1
	s_add_i32 s58, s1, 6
	s_add_i32 s57, s57, -1
	s_lshl_b32 s58, 1, s58
	s_and_b32 s57, s57, s54
	s_delay_alu instid0(SALU_CYCLE_1)
	s_cmp_lg_u32 s57, s58
	s_cselect_b32 s57, -1, 0
	s_max_i32 s58, s1, 0
	s_or_b32 s56, s56, s2
	s_lshr_b32 s58, s54, s58
	s_or_b32 vcc_lo, s56, s57
	s_bfe_u32 s54, s58, 0x10007
	v_cndmask_b32_e64 v5, s58, v18, s2
	s_add_i32 s54, s58, s54
	s_add_i32 s1, s1, s55
	s_add_i32 s54, s54, -1
	s_delay_alu instid0(VALU_DEP_1) | instid1(SALU_CYCLE_1)
	v_cndmask_b32_e32 v5, s54, v5, vcc_lo
	s_lshr_b32 s54, s58, 10
	s_delay_alu instid0(SALU_CYCLE_1) | instskip(NEXT) | instid1(VALU_DEP_1)
	s_xor_b32 s54, s54, 1
	v_and_b32_e32 v5, 0x7f, v5
	s_cmp_lg_u32 s1, s54
	s_delay_alu instid0(VALU_DEP_1)
	v_add_nc_u32_e32 v18, s58, v5
	s_cbranch_scc0 .LBB1_44
; %bb.39:                               ;   in Loop: Header=BB1_20 Depth=4
	s_delay_alu instid0(VALU_DEP_1) | instskip(SKIP_3) | instid1(VALU_DEP_2)
	v_cmp_lt_u32_e32 vcc_lo, 0x7ff, v18
	s_sub_i32 s1, s1, s54
	v_cndmask_b32_e64 v19, 0, 1, vcc_lo
	v_add_co_ci_u32_e64 v5, null, s1, 0, vcc_lo
	v_lshrrev_b32_e32 v19, v19, v18
	s_cbranch_execz .LBB1_45
	s_branch .LBB1_46
.LBB1_40:                               ;   in Loop: Header=BB1_20 Depth=4
	v_max_i32_e32 v6, v17, v20
	s_mov_b32 s1, 1
	s_delay_alu instid0(VALU_DEP_1) | instskip(NEXT) | instid1(VALU_DEP_1)
	v_mul_hi_u32 v5, v6, v9
	v_mul_lo_u32 v18, v5, s46
	s_delay_alu instid0(VALU_DEP_1) | instskip(SKIP_1) | instid1(VALU_DEP_2)
	v_sub_nc_u32_e32 v6, v6, v18
	v_ashrrev_i32_e32 v18, 31, v17
	v_subrev_nc_u32_e32 v19, s46, v6
	v_cmp_le_u32_e32 vcc_lo, s46, v6
	s_delay_alu instid0(VALU_DEP_2) | instskip(NEXT) | instid1(VALU_DEP_1)
	v_cndmask_b32_e32 v20, v6, v19, vcc_lo
	v_subrev_nc_u32_e32 v21, s46, v20
	v_cmp_le_u32_e32 vcc_lo, s46, v20
	s_delay_alu instid0(VALU_DEP_2) | instskip(NEXT) | instid1(VALU_DEP_1)
	v_cndmask_b32_e32 v20, v20, v21, vcc_lo
	v_xor_b32_e32 v20, v20, v18
	s_delay_alu instid0(VALU_DEP_1) | instskip(NEXT) | instid1(VALU_DEP_1)
	v_sub_nc_u32_e32 v20, v20, v18
	v_cmp_ne_u32_e32 vcc_lo, 0, v20
                                        ; implicit-def: $vgpr20
	s_and_b32 s0, vcc_lo, exec_lo
	s_and_not1_saveexec_b32 s53, s53
	s_cbranch_execz .LBB1_22
.LBB1_41:                               ;   in Loop: Header=BB1_20 Depth=4
	v_max_i32_e32 v6, v17, v20
	s_or_b32 s0, s0, exec_lo
	s_delay_alu instid0(VALU_DEP_1) | instskip(NEXT) | instid1(VALU_DEP_1)
	v_mul_hi_u32 v5, v6, v9
	v_mul_lo_u32 v18, v5, s46
	s_delay_alu instid0(VALU_DEP_1) | instskip(SKIP_1) | instid1(VALU_DEP_2)
	v_sub_nc_u32_e32 v6, v6, v18
	v_ashrrev_i32_e32 v18, 31, v17
	v_subrev_nc_u32_e32 v19, s46, v6
	s_or_b32 exec_lo, exec_lo, s53
	v_mov_b32_e32 v20, s1
	s_and_saveexec_b32 s1, s0
	s_cbranch_execnz .LBB1_23
	s_branch .LBB1_24
.LBB1_42:                               ;   in Loop: Header=BB1_20 Depth=4
                                        ; implicit-def: $sgpr1
	v_mov_b32_e32 v20, s1
	v_mov_b32_e32 v18, s1
	s_branch .LBB1_27
.LBB1_43:                               ;   in Loop: Header=BB1_20 Depth=4
	v_mov_b32_e32 v5, 0
	s_branch .LBB1_47
.LBB1_44:                               ;   in Loop: Header=BB1_20 Depth=4
                                        ; implicit-def: $vgpr19
                                        ; implicit-def: $vgpr5
.LBB1_45:                               ;   in Loop: Header=BB1_20 Depth=4
	s_delay_alu instid0(VALU_DEP_1)
	v_bfe_u32 v5, v18, 10, 1
	v_mov_b32_e32 v19, v18
.LBB1_46:                               ;   in Loop: Header=BB1_20 Depth=4
	s_delay_alu instid0(VALU_DEP_1) | instskip(NEXT) | instid1(VALU_DEP_3)
	v_lshrrev_b32_e32 v18, 7, v19
	v_cmp_gt_i32_e32 vcc_lo, 16, v5
	v_min_i32_e32 v19, 15, v5
	s_lshr_b32 s0, s0, 8
	s_delay_alu instid0(SALU_CYCLE_1) | instskip(NEXT) | instid1(VALU_DEP_1)
	s_and_b32 s0, s0, 0x80
	v_dual_cndmask_b32 v18, 7, v18 :: v_dual_lshlrev_b32 v19, 3, v19
	s_delay_alu instid0(VALU_DEP_1) | instskip(SKIP_1) | instid1(VALU_DEP_2)
	v_and_b32_e32 v20, 7, v18
	v_or_b32_e32 v5, v5, v18
	v_or3_b32 v18, v19, s0, v20
	s_delay_alu instid0(VALU_DEP_2) | instskip(NEXT) | instid1(VALU_DEP_2)
	v_cmp_ne_u32_e32 vcc_lo, 0, v5
	v_cndmask_b32_e32 v5, 0, v18, vcc_lo
.LBB1_47:                               ;   in Loop: Header=BB1_20 Depth=4
	v_and_b32_e32 v19, 0xff, v6
	s_mov_b32 s0, 0
	s_mov_b32 s54, exec_lo
                                        ; implicit-def: $sgpr1
	s_delay_alu instid0(VALU_DEP_1)
	v_cmpx_lt_i16_e32 0x7f, v19
	s_xor_b32 s54, exec_lo, s54
	s_cbranch_execnz .LBB1_54
; %bb.48:                               ;   in Loop: Header=BB1_20 Depth=4
	s_or_saveexec_b32 s54, s54
	v_mov_b32_e32 v18, s1
	s_xor_b32 exec_lo, exec_lo, s54
	s_cbranch_execnz .LBB1_57
.LBB1_49:                               ;   in Loop: Header=BB1_20 Depth=4
	s_or_b32 exec_lo, exec_lo, s54
	s_and_saveexec_b32 s1, s0
	s_cbranch_execz .LBB1_51
.LBB1_50:                               ;   in Loop: Header=BB1_20 Depth=4
	v_lshrrev_b16 v21, 3, v6
	s_delay_alu instid0(VALU_DEP_1) | instskip(NEXT) | instid1(VALU_DEP_1)
	v_and_b32_e32 v21, 15, v21
	v_cmp_eq_u32_e32 vcc_lo, 0, v21
	v_and_b32_e32 v18, 7, v6
	s_delay_alu instid0(VALU_DEP_1) | instskip(NEXT) | instid1(VALU_DEP_1)
	v_clz_i32_u32_e32 v19, v18
	v_subrev_nc_u32_e32 v20, 28, v19
	v_sub_nc_u32_e32 v19, 29, v19
	s_delay_alu instid0(VALU_DEP_1) | instskip(SKIP_1) | instid1(VALU_DEP_2)
	v_dual_cndmask_b32 v19, v21, v19 :: v_dual_lshlrev_b32 v20, v20, v6
	v_lshlrev_b32_e32 v6, 24, v6
	v_and_b32_e32 v20, 7, v20
	s_delay_alu instid0(VALU_DEP_3) | instskip(NEXT) | instid1(VALU_DEP_3)
	v_lshl_add_u32 v19, v19, 23, 0x3b800000
	v_and_b32_e32 v6, 0x80000000, v6
	s_delay_alu instid0(VALU_DEP_3) | instskip(NEXT) | instid1(VALU_DEP_1)
	v_cndmask_b32_e32 v18, v18, v20, vcc_lo
	v_lshlrev_b32_e32 v18, 20, v18
	s_delay_alu instid0(VALU_DEP_1)
	v_or3_b32 v18, v6, v19, v18
.LBB1_51:                               ;   in Loop: Header=BB1_20 Depth=4
	s_or_b32 exec_lo, exec_lo, s1
	v_and_b32_e32 v19, 0xff, v5
	s_mov_b32 s0, 0
	s_mov_b32 s54, exec_lo
                                        ; implicit-def: $sgpr1
	s_delay_alu instid0(VALU_DEP_1)
	v_cmpx_lt_i16_e32 0x7f, v19
	s_xor_b32 s54, exec_lo, s54
	s_cbranch_execnz .LBB1_58
; %bb.52:                               ;   in Loop: Header=BB1_20 Depth=4
	s_or_saveexec_b32 s54, s54
	v_mov_b32_e32 v6, s1
	s_xor_b32 exec_lo, exec_lo, s54
	s_cbranch_execnz .LBB1_61
.LBB1_53:                               ;   in Loop: Header=BB1_20 Depth=4
	s_or_b32 exec_lo, exec_lo, s54
	s_and_saveexec_b32 s1, s0
	s_cbranch_execz .LBB1_18
	s_branch .LBB1_62
.LBB1_54:                               ;   in Loop: Header=BB1_20 Depth=4
	s_mov_b32 s0, -1
	s_mov_b32 s55, exec_lo
                                        ; implicit-def: $sgpr1
	v_cmpx_eq_u16_e32 0x80, v19
; %bb.55:                               ;   in Loop: Header=BB1_20 Depth=4
	s_mov_b32 s1, 0x7f800001
	s_xor_b32 s0, exec_lo, -1
; %bb.56:                               ;   in Loop: Header=BB1_20 Depth=4
	s_or_b32 exec_lo, exec_lo, s55
	s_delay_alu instid0(SALU_CYCLE_1)
	s_and_b32 s0, s0, exec_lo
                                        ; implicit-def: $vgpr19
	s_or_saveexec_b32 s54, s54
	v_mov_b32_e32 v18, s1
	s_xor_b32 exec_lo, exec_lo, s54
	s_cbranch_execz .LBB1_49
.LBB1_57:                               ;   in Loop: Header=BB1_20 Depth=4
	v_cmp_ne_u16_e32 vcc_lo, 0, v19
	v_mov_b32_e32 v18, 0
	s_and_not1_b32 s0, s0, exec_lo
	s_and_b32 s1, vcc_lo, exec_lo
	s_delay_alu instid0(SALU_CYCLE_1)
	s_or_b32 s0, s0, s1
	s_or_b32 exec_lo, exec_lo, s54
	s_and_saveexec_b32 s1, s0
	s_cbranch_execnz .LBB1_50
	s_branch .LBB1_51
.LBB1_58:                               ;   in Loop: Header=BB1_20 Depth=4
	s_mov_b32 s0, -1
	s_mov_b32 s55, exec_lo
                                        ; implicit-def: $sgpr1
	v_cmpx_eq_u16_e32 0x80, v19
; %bb.59:                               ;   in Loop: Header=BB1_20 Depth=4
	s_mov_b32 s1, 0x7f800001
	s_xor_b32 s0, exec_lo, -1
; %bb.60:                               ;   in Loop: Header=BB1_20 Depth=4
	s_or_b32 exec_lo, exec_lo, s55
	s_delay_alu instid0(SALU_CYCLE_1)
	s_and_b32 s0, s0, exec_lo
                                        ; implicit-def: $vgpr19
	s_or_saveexec_b32 s54, s54
	v_mov_b32_e32 v6, s1
	s_xor_b32 exec_lo, exec_lo, s54
	s_cbranch_execz .LBB1_53
.LBB1_61:                               ;   in Loop: Header=BB1_20 Depth=4
	v_cmp_ne_u16_e32 vcc_lo, 0, v19
	v_mov_b32_e32 v6, 0
	s_and_not1_b32 s0, s0, exec_lo
	s_and_b32 s1, vcc_lo, exec_lo
	s_delay_alu instid0(SALU_CYCLE_1)
	s_or_b32 s0, s0, s1
	s_or_b32 exec_lo, exec_lo, s54
	s_and_saveexec_b32 s1, s0
	s_cbranch_execz .LBB1_18
.LBB1_62:                               ;   in Loop: Header=BB1_20 Depth=4
	v_lshrrev_b16 v21, 3, v5
	s_delay_alu instid0(VALU_DEP_1) | instskip(NEXT) | instid1(VALU_DEP_1)
	v_and_b32_e32 v21, 15, v21
	v_cmp_eq_u32_e32 vcc_lo, 0, v21
	v_and_b32_e32 v6, 7, v5
	s_delay_alu instid0(VALU_DEP_1) | instskip(NEXT) | instid1(VALU_DEP_1)
	v_clz_i32_u32_e32 v19, v6
	v_subrev_nc_u32_e32 v20, 28, v19
	v_sub_nc_u32_e32 v19, 29, v19
	s_delay_alu instid0(VALU_DEP_1) | instskip(SKIP_1) | instid1(VALU_DEP_2)
	v_dual_cndmask_b32 v19, v21, v19 :: v_dual_lshlrev_b32 v20, v20, v5
	v_lshlrev_b32_e32 v5, 24, v5
	v_and_b32_e32 v20, 7, v20
	s_delay_alu instid0(VALU_DEP_3) | instskip(NEXT) | instid1(VALU_DEP_2)
	v_lshl_add_u32 v19, v19, 23, 0x3b800000
	v_dual_cndmask_b32 v6, v6, v20 :: v_dual_and_b32 v5, 0x80000000, v5
	s_delay_alu instid0(VALU_DEP_1) | instskip(NEXT) | instid1(VALU_DEP_1)
	v_lshlrev_b32_e32 v6, 20, v6
	v_or3_b32 v6, v5, v19, v6
	s_branch .LBB1_18
.LBB1_63:
	s_nop 0
	s_sendmsg sendmsg(MSG_DEALLOC_VGPRS)
	s_endpgm
	.section	.rodata,"a",@progbits
	.p2align	6, 0x0
	.amdhsa_kernel naive_conv_nonpacked_bwd_nchw_half_half_half
		.amdhsa_group_segment_fixed_size 0
		.amdhsa_private_segment_fixed_size 0
		.amdhsa_kernarg_size 352
		.amdhsa_user_sgpr_count 15
		.amdhsa_user_sgpr_dispatch_ptr 0
		.amdhsa_user_sgpr_queue_ptr 0
		.amdhsa_user_sgpr_kernarg_segment_ptr 1
		.amdhsa_user_sgpr_dispatch_id 0
		.amdhsa_user_sgpr_private_segment_size 0
		.amdhsa_wavefront_size32 1
		.amdhsa_uses_dynamic_stack 0
		.amdhsa_enable_private_segment 0
		.amdhsa_system_sgpr_workgroup_id_x 1
		.amdhsa_system_sgpr_workgroup_id_y 0
		.amdhsa_system_sgpr_workgroup_id_z 0
		.amdhsa_system_sgpr_workgroup_info 0
		.amdhsa_system_vgpr_workitem_id 0
		.amdhsa_next_free_vgpr 26
		.amdhsa_next_free_sgpr 59
		.amdhsa_reserve_vcc 1
		.amdhsa_float_round_mode_32 0
		.amdhsa_float_round_mode_16_64 0
		.amdhsa_float_denorm_mode_32 3
		.amdhsa_float_denorm_mode_16_64 3
		.amdhsa_dx10_clamp 1
		.amdhsa_ieee_mode 1
		.amdhsa_fp16_overflow 0
		.amdhsa_workgroup_processor_mode 1
		.amdhsa_memory_ordered 1
		.amdhsa_forward_progress 0
		.amdhsa_shared_vgpr_count 0
		.amdhsa_exception_fp_ieee_invalid_op 0
		.amdhsa_exception_fp_denorm_src 0
		.amdhsa_exception_fp_ieee_div_zero 0
		.amdhsa_exception_fp_ieee_overflow 0
		.amdhsa_exception_fp_ieee_underflow 0
		.amdhsa_exception_fp_ieee_inexact 0
		.amdhsa_exception_int_div_zero 0
	.end_amdhsa_kernel
	.text
.Lfunc_end1:
	.size	naive_conv_nonpacked_bwd_nchw_half_half_half, .Lfunc_end1-naive_conv_nonpacked_bwd_nchw_half_half_half
                                        ; -- End function
	.section	.AMDGPU.csdata,"",@progbits
; Kernel info:
; codeLenInByte = 3888
; NumSgprs: 61
; NumVgprs: 26
; ScratchSize: 0
; MemoryBound: 0
; FloatMode: 240
; IeeeMode: 1
; LDSByteSize: 0 bytes/workgroup (compile time only)
; SGPRBlocks: 7
; VGPRBlocks: 3
; NumSGPRsForWavesPerEU: 61
; NumVGPRsForWavesPerEU: 26
; Occupancy: 16
; WaveLimiterHint : 0
; COMPUTE_PGM_RSRC2:SCRATCH_EN: 0
; COMPUTE_PGM_RSRC2:USER_SGPR: 15
; COMPUTE_PGM_RSRC2:TRAP_HANDLER: 0
; COMPUTE_PGM_RSRC2:TGID_X_EN: 1
; COMPUTE_PGM_RSRC2:TGID_Y_EN: 0
; COMPUTE_PGM_RSRC2:TGID_Z_EN: 0
; COMPUTE_PGM_RSRC2:TIDIG_COMP_CNT: 0
	.text
	.protected	naive_conv_nonpacked_wrw_nchw_half_half_half ; -- Begin function naive_conv_nonpacked_wrw_nchw_half_half_half
	.globl	naive_conv_nonpacked_wrw_nchw_half_half_half
	.p2align	8
	.type	naive_conv_nonpacked_wrw_nchw_half_half_half,@function
naive_conv_nonpacked_wrw_nchw_half_half_half: ; @naive_conv_nonpacked_wrw_nchw_half_half_half
; %bb.0:
	s_load_b512 s[16:31], s[0:1], 0x18
	s_mov_b32 s2, exec_lo
	s_waitcnt lgkmcnt(0)
	s_abs_i32 s10, s19
	s_mul_i32 s12, s30, s29
	v_cvt_f32_u32_e32 v1, s10
	s_mul_i32 s13, s12, s20
	s_delay_alu instid0(VALU_DEP_1) | instskip(SKIP_2) | instid1(VALU_DEP_1)
	v_rcp_iflag_f32_e32 v1, v1
	s_waitcnt_depctr 0xfff
	v_mul_f32_e32 v1, 0x4f7ffffe, v1
	v_cvt_u32_f32_e32 v1, v1
	s_delay_alu instid0(VALU_DEP_1)
	v_readfirstlane_b32 s11, v1
	v_cmpx_gt_i32_e64 s13, v0
	s_cbranch_execz .LBB2_52
; %bb.1:
	s_clause 0x2
	s_load_b64 s[2:3], s[0:1], 0x58
	s_load_b128 s[4:7], s[0:1], 0x0
	s_load_b64 s[8:9], s[0:1], 0x10
	s_sub_i32 s34, 0, s10
	s_abs_i32 s35, s15
	s_mul_i32 s34, s34, s11
	s_ashr_i32 s14, s15, 31
	s_mul_hi_u32 s34, s11, s34
	s_ashr_i32 s33, s19, 31
	s_add_i32 s11, s11, s34
	s_mul_i32 s37, s17, s16
	s_mul_hi_u32 s11, s35, s11
	s_mul_hi_i32 s36, s17, s16
	s_mul_i32 s34, s11, s10
	s_mul_hi_u32 s38, s37, s20
	s_mul_i32 s36, s36, s20
	s_mul_i32 s42, s31, s20
	s_mov_b32 s48, s16
	s_mov_b32 s49, s17
	;; [unrolled: 1-line block ×3, first 2 shown]
	s_waitcnt lgkmcnt(0)
	s_bitcmp1_b32 s2, 0
	s_mov_b32 s50, s29
	s_cselect_b32 s2, -1, 0
	s_xor_b32 s39, s14, s33
	s_sub_i32 s33, s35, s34
	s_add_i32 s34, s11, 1
	s_xor_b32 s14, s2, -1
	s_sub_i32 s35, s33, s10
	s_cmp_ge_u32 s33, s10
	s_mov_b32 s51, s21
	s_cselect_b32 s11, s34, s11
	s_cselect_b32 s33, s35, s33
	s_add_i32 s34, s11, 1
	s_cmp_ge_u32 s33, s10
	s_mul_i32 s10, s37, s20
	s_cselect_b32 s11, s34, s11
	s_ashr_i32 s35, s20, 31
	s_xor_b32 s11, s11, s39
	s_mul_i32 s37, s37, s35
	s_sub_i32 s39, s11, s39
	s_add_i32 s11, s38, s37
	s_ashr_i32 s35, s39, 31
	s_add_i32 s11, s11, s36
	s_mul_hi_u32 s36, s10, s39
	s_mul_i32 s35, s10, s35
	s_mul_i32 s11, s11, s39
	s_add_i32 s35, s36, s35
	s_mul_i32 s10, s10, s39
	s_add_i32 s11, s35, s11
	s_mul_i32 s40, s39, s19
	s_lshl_b64 s[10:11], s[10:11], 1
	s_ashr_i32 s33, s16, 31
	s_ashr_i32 s34, s17, 31
	s_sub_i32 s41, s15, s40
	s_add_u32 s35, s4, s10
	s_addc_u32 s36, s5, s11
	s_mul_hi_i32 s4, s39, s19
	s_ashr_i32 s37, s29, 31
	s_ashr_i32 s38, s30, 31
	s_ashr_i32 s5, s41, 31
	s_mul_i32 s10, s29, s20
	s_add_u32 s52, s40, s41
	s_addc_u32 s53, s4, s5
	s_mul_i32 s4, s10, s38
	s_mul_hi_u32 s5, s10, s30
	s_mul_hi_i32 s11, s29, s20
	s_add_i32 s4, s5, s4
	s_mul_i32 s10, s10, s30
	s_mul_i32 s11, s11, s30
	;; [unrolled: 1-line block ×3, first 2 shown]
	s_mul_hi_u32 s39, s10, s52
	s_add_i32 s4, s4, s11
	s_add_i32 s5, s39, s5
	s_mul_i32 s4, s4, s52
	s_mul_i32 s20, s31, s19
	s_add_i32 s5, s5, s4
	s_mul_i32 s4, s10, s52
	s_mul_i32 s16, s22, s21
	s_lshl_b64 s[4:5], s[4:5], 1
	s_mul_hi_i32 s17, s22, s21
	s_add_u32 s39, s6, s4
	s_addc_u32 s40, s7, s5
	s_ashr_i32 s11, s22, 31
	s_cmp_lt_i32 s18, 1
	s_mov_b32 s10, s22
	s_cselect_b32 s41, -1, 0
	s_cmp_gt_i32 s21, 0
	v_mov_b32_e32 v15, v0
	s_cselect_b32 s43, -1, 0
	s_cmp_gt_i32 s22, 0
	s_cselect_b32 s19, -1, 0
	s_ashr_i32 s31, s42, 31
	s_ashr_i32 s7, s20, 31
	s_add_u32 s4, s0, 0x60
	s_addc_u32 s5, s1, 0
	s_abs_i32 s44, s30
	s_abs_i32 s45, s29
	v_cvt_f32_u32_e32 v1, s44
	v_cvt_f32_u32_e32 v2, s45
	s_abs_i32 s46, s12
	s_sub_i32 s0, 0, s44
	v_cvt_f32_u32_e32 v3, s46
	v_rcp_iflag_f32_e32 v1, v1
	v_rcp_iflag_f32_e32 v2, v2
	s_mul_hi_u32 s1, s16, s52
	s_delay_alu instid0(VALU_DEP_1) | instskip(SKIP_2) | instid1(VALU_DEP_1)
	v_rcp_iflag_f32_e32 v3, v3
	s_waitcnt_depctr 0xfff
	v_dual_mul_f32 v1, 0x4f7ffffe, v1 :: v_dual_mul_f32 v2, 0x4f7ffffe, v2
	v_cvt_u32_f32_e32 v1, v1
	s_delay_alu instid0(VALU_DEP_2) | instskip(NEXT) | instid1(VALU_DEP_2)
	v_cvt_u32_f32_e32 v2, v2
	v_mul_lo_u32 v4, s0, v1
	s_sub_i32 s0, 0, s45
	s_delay_alu instid0(VALU_DEP_2) | instid1(SALU_CYCLE_1)
	v_mul_lo_u32 v5, s0, v2
	s_sub_i32 s0, 0, s46
	s_delay_alu instid0(VALU_DEP_2) | instskip(SKIP_1) | instid1(VALU_DEP_3)
	v_mul_hi_u32 v4, v1, v4
	v_mul_f32_e32 v3, 0x4f7ffffe, v3
	v_mul_hi_u32 v5, v2, v5
	s_delay_alu instid0(VALU_DEP_3) | instskip(NEXT) | instid1(VALU_DEP_3)
	v_add_nc_u32_e32 v12, v1, v4
	v_cvt_u32_f32_e32 v3, v3
	s_delay_alu instid0(VALU_DEP_3) | instskip(NEXT) | instid1(VALU_DEP_2)
	v_dual_mov_b32 v2, 0 :: v_dual_add_nc_u32 v13, v2, v5
	v_mul_lo_u32 v1, s0, v3
	s_mul_i32 s0, s16, s53
	s_delay_alu instid0(SALU_CYCLE_1) | instskip(SKIP_4) | instid1(VALU_DEP_1)
	s_add_i32 s0, s1, s0
	s_mul_i32 s1, s17, s52
	s_mul_i32 s17, s17, s20
	s_add_i32 s1, s0, s1
	s_mul_i32 s0, s16, s52
	v_mul_hi_u32 v1, v3, v1
	s_lshl_b64 s[0:1], s[0:1], 1
	s_ashr_i32 s52, s12, 31
	s_add_u32 s6, s8, s0
	s_mul_hi_u32 s0, s16, s20
	s_mul_i32 s8, s16, s7
	s_addc_u32 s7, s9, s1
	s_add_i32 s0, s0, s8
	v_add_nc_u32_e32 v14, v3, v1
	s_add_i32 s1, s0, s17
	s_mul_i32 s0, s16, s20
	s_lshl_b64 s[10:11], s[10:11], 1
	s_lshl_b64 s[8:9], s[0:1], 1
	s_sub_i32 s12, 0, s28
	s_branch .LBB2_3
.LBB2_2:                                ;   in Loop: Header=BB2_3 Depth=1
	s_delay_alu instid0(VALU_DEP_1)
	v_and_or_b32 v1, 0x1ff, v7, v6
	v_lshrrev_b32_e32 v6, 8, v7
	v_bfe_u32 v9, v7, 20, 11
	v_mul_lo_u32 v17, v5, s50
	v_lshrrev_b32_e32 v7, 16, v7
	v_cmp_ne_u32_e32 vcc_lo, 0, v1
	v_add_nc_u32_e32 v15, 0x100, v15
	v_sub_nc_u32_e32 v10, 0x3f1, v9
	v_cndmask_b32_e64 v1, 0, 1, vcc_lo
	s_delay_alu instid0(VALU_DEP_1) | instskip(NEXT) | instid1(VALU_DEP_3)
	v_and_or_b32 v1, 0xffe, v6, v1
	v_med3_i32 v6, v10, 0, 13
	s_delay_alu instid0(VALU_DEP_2) | instskip(SKIP_1) | instid1(VALU_DEP_2)
	v_or_b32_e32 v10, 0x1000, v1
	v_cmp_ne_u32_e64 s1, 0, v1
	v_lshrrev_b32_e32 v11, v6, v10
	s_delay_alu instid0(VALU_DEP_1) | instskip(NEXT) | instid1(VALU_DEP_1)
	v_lshlrev_b32_e32 v6, v6, v11
	v_cmp_ne_u32_e32 vcc_lo, v6, v10
	v_mul_lo_u32 v10, v4, s37
	v_cndmask_b32_e64 v6, 0, 1, vcc_lo
	s_delay_alu instid0(VALU_DEP_1) | instskip(SKIP_2) | instid1(VALU_DEP_2)
	v_or_b32_e32 v11, v11, v6
	v_add_nc_u32_e32 v16, 0xfffffc10, v9
	v_ashrrev_i32_e32 v9, 31, v8
	v_lshl_or_b32 v18, v16, 12, v1
	v_cmp_gt_i32_e32 vcc_lo, 1, v16
	s_delay_alu instid0(VALU_DEP_3) | instskip(SKIP_3) | instid1(VALU_DEP_3)
	v_mad_u64_u32 v[5:6], null, v4, s50, v[8:9]
	v_cndmask_b32_e64 v1, 0, 1, s1
	v_mov_b32_e32 v4, v2
	v_cndmask_b32_e32 v11, v18, v11, vcc_lo
	v_lshl_or_b32 v1, v1, 9, 0x7c00
	v_add3_u32 v6, v17, v6, v10
	s_delay_alu instid0(VALU_DEP_3) | instskip(SKIP_2) | instid1(VALU_DEP_4)
	v_and_b32_e32 v10, 7, v11
	v_mul_lo_u32 v17, v5, s38
	v_mad_u64_u32 v[8:9], null, v5, s30, 0
	v_mul_lo_u32 v5, v6, s30
	s_delay_alu instid0(VALU_DEP_4) | instskip(SKIP_3) | instid1(VALU_DEP_3)
	v_cmp_lt_i32_e32 vcc_lo, 5, v10
	v_cmp_eq_u32_e64 s0, 3, v10
	v_lshrrev_b32_e32 v6, 2, v11
	v_lshlrev_b64 v[3:4], 1, v[3:4]
	s_or_b32 vcc_lo, s0, vcc_lo
	v_add3_u32 v9, v9, v17, v5
	s_delay_alu instid0(VALU_DEP_3) | instskip(SKIP_2) | instid1(VALU_DEP_3)
	v_add_co_ci_u32_e32 v6, vcc_lo, 0, v6, vcc_lo
	v_cmp_gt_i32_e32 vcc_lo, 31, v16
	v_cmp_eq_u32_e64 s0, 0x40f, v16
	v_cndmask_b32_e32 v10, 0x7c00, v6, vcc_lo
	v_lshlrev_b64 v[5:6], 1, v[8:9]
	v_cmp_le_i32_e32 vcc_lo, s13, v15
	s_delay_alu instid0(VALU_DEP_3) | instskip(NEXT) | instid1(VALU_DEP_3)
	v_cndmask_b32_e64 v1, v10, v1, s0
	v_add_co_u32 v5, s0, s39, v5
	s_delay_alu instid0(VALU_DEP_1) | instskip(NEXT) | instid1(VALU_DEP_3)
	v_add_co_ci_u32_e64 v6, s0, s40, v6, s0
	v_and_or_b32 v1, 0x8000, v7, v1
	s_delay_alu instid0(VALU_DEP_3) | instskip(NEXT) | instid1(VALU_DEP_1)
	v_add_co_u32 v3, s0, v5, v3
	v_add_co_ci_u32_e64 v4, s0, v6, v4, s0
	s_or_b32 s47, vcc_lo, s47
	global_store_b16 v[3:4], v1, off
	s_and_not1_b32 exec_lo, exec_lo, s47
	s_cbranch_execz .LBB2_52
.LBB2_3:                                ; =>This Loop Header: Depth=1
                                        ;     Child Loop BB2_8 Depth 2
                                        ;       Child Loop BB2_11 Depth 3
                                        ;         Child Loop BB2_15 Depth 4
	v_mul_hi_u32 v1, v15, v12
	s_mov_b32 s1, -1
                                        ; implicit-def: $sgpr16_sgpr17
	s_delay_alu instid0(VALU_DEP_1) | instskip(SKIP_1) | instid1(VALU_DEP_2)
	v_mul_lo_u32 v3, v1, s44
	v_add_nc_u32_e32 v4, 1, v1
	v_sub_nc_u32_e32 v3, v15, v3
	s_delay_alu instid0(VALU_DEP_1) | instskip(SKIP_1) | instid1(VALU_DEP_2)
	v_subrev_nc_u32_e32 v5, s44, v3
	v_cmp_le_u32_e32 vcc_lo, s44, v3
	v_cndmask_b32_e32 v3, v3, v5, vcc_lo
	v_cndmask_b32_e32 v1, v1, v4, vcc_lo
	s_delay_alu instid0(VALU_DEP_2) | instskip(SKIP_1) | instid1(VALU_DEP_1)
	v_cmp_le_u32_e32 vcc_lo, s44, v3
	v_mul_hi_u32 v3, v15, v14
	v_mul_lo_u32 v5, v3, s46
	v_add_nc_u32_e32 v7, 1, v3
	s_delay_alu instid0(VALU_DEP_2) | instskip(SKIP_1) | instid1(VALU_DEP_1)
	v_sub_nc_u32_e32 v5, v15, v5
	v_add_nc_u32_e32 v4, 1, v1
	v_cndmask_b32_e32 v1, v1, v4, vcc_lo
	s_delay_alu instid0(VALU_DEP_3) | instskip(NEXT) | instid1(VALU_DEP_2)
	v_cmp_le_u32_e32 vcc_lo, s46, v5
	v_xor_b32_e32 v1, s38, v1
	v_cndmask_b32_e32 v3, v3, v7, vcc_lo
	v_subrev_nc_u32_e32 v7, s46, v5
	s_delay_alu instid0(VALU_DEP_3) | instskip(NEXT) | instid1(VALU_DEP_2)
	v_subrev_nc_u32_e32 v1, s38, v1
	v_cndmask_b32_e32 v5, v5, v7, vcc_lo
	s_delay_alu instid0(VALU_DEP_4) | instskip(NEXT) | instid1(VALU_DEP_3)
	v_add_nc_u32_e32 v7, 1, v3
	v_sub_nc_u32_e32 v4, 0, v1
	s_delay_alu instid0(VALU_DEP_3) | instskip(NEXT) | instid1(VALU_DEP_2)
	v_cmp_le_u32_e32 vcc_lo, s46, v5
	v_max_i32_e32 v4, v1, v4
	s_delay_alu instid0(VALU_DEP_4) | instskip(NEXT) | instid1(VALU_DEP_2)
	v_cndmask_b32_e32 v3, v3, v7, vcc_lo
	v_mul_hi_u32 v6, v4, v13
	s_delay_alu instid0(VALU_DEP_1) | instskip(NEXT) | instid1(VALU_DEP_1)
	v_mul_lo_u32 v6, v6, s45
	v_sub_nc_u32_e32 v4, v4, v6
	s_delay_alu instid0(VALU_DEP_4) | instskip(NEXT) | instid1(VALU_DEP_2)
	v_xor_b32_e32 v6, s52, v3
	v_subrev_nc_u32_e32 v5, s45, v4
	v_cmp_le_u32_e32 vcc_lo, s45, v4
	s_delay_alu instid0(VALU_DEP_2) | instskip(NEXT) | instid1(VALU_DEP_4)
	v_cndmask_b32_e32 v3, v4, v5, vcc_lo
	v_subrev_nc_u32_e32 v4, s52, v6
	s_and_not1_b32 vcc_lo, exec_lo, s41
	s_delay_alu instid0(VALU_DEP_2) | instskip(NEXT) | instid1(VALU_DEP_2)
	v_cmp_le_u32_e64 s0, s45, v3
	v_ashrrev_i32_e32 v5, 31, v4
	s_cbranch_vccnz .LBB2_5
; %bb.4:                                ;   in Loop: Header=BB2_3 Depth=1
	s_mov_b32 s1, 0
	s_mov_b64 s[16:17], 0
.LBB2_5:                                ;   in Loop: Header=BB2_3 Depth=1
	v_subrev_nc_u32_e32 v6, s45, v3
	v_ashrrev_i32_e32 v7, 31, v1
	v_mul_lo_u32 v1, v1, s30
	s_and_not1_b32 vcc_lo, exec_lo, s1
	s_delay_alu instid0(VALU_DEP_3) | instskip(NEXT) | instid1(VALU_DEP_1)
	v_cndmask_b32_e64 v3, v3, v6, s0
	v_xor_b32_e32 v6, v3, v7
	s_delay_alu instid0(VALU_DEP_3) | instskip(NEXT) | instid1(VALU_DEP_2)
	v_sub_nc_u32_e32 v3, v15, v1
	v_sub_nc_u32_e32 v8, v6, v7
	v_dual_mov_b32 v6, s16 :: v_dual_mov_b32 v7, s17
	s_cbranch_vccnz .LBB2_2
; %bb.6:                                ;   in Loop: Header=BB2_3 Depth=1
	s_delay_alu instid0(VALU_DEP_2)
	v_mul_lo_u32 v16, v8, s25
	v_mad_u64_u32 v[9:10], null, v3, s26, s[12:13]
	v_mov_b32_e32 v6, 0
	v_mov_b32_e32 v7, 0
	s_mov_b32 s53, 0
	s_mov_b64 s[16:17], s[6:7]
	s_branch .LBB2_8
.LBB2_7:                                ;   in Loop: Header=BB2_8 Depth=2
	s_add_i32 s53, s53, 1
	s_add_u32 s16, s16, s8
	s_addc_u32 s17, s17, s9
	s_cmp_eq_u32 s53, s18
	s_cbranch_scc1 .LBB2_2
.LBB2_8:                                ;   Parent Loop BB2_3 Depth=1
                                        ; =>  This Loop Header: Depth=2
                                        ;       Child Loop BB2_11 Depth 3
                                        ;         Child Loop BB2_15 Depth 4
	s_and_not1_b32 vcc_lo, exec_lo, s43
	s_cbranch_vccnz .LBB2_7
; %bb.9:                                ;   in Loop: Header=BB2_8 Depth=2
	v_mad_u64_u32 v[17:18], null, s53, s42, v[4:5]
	s_mov_b32 s54, 0
	s_mov_b64 s[20:21], s[16:17]
	s_delay_alu instid0(VALU_DEP_1) | instskip(NEXT) | instid1(VALU_DEP_1)
	v_mov_b32_e32 v1, v18
	v_mad_u64_u32 v[10:11], null, s53, s31, v[1:2]
	s_delay_alu instid0(VALU_DEP_3) | instskip(NEXT) | instid1(VALU_DEP_2)
	v_mul_lo_u32 v1, v17, s33
	v_mul_lo_u32 v18, v10, s48
	v_mad_u64_u32 v[10:11], null, v17, s48, 0
	s_delay_alu instid0(VALU_DEP_1)
	v_add3_u32 v11, v11, v1, v18
	s_branch .LBB2_11
.LBB2_10:                               ;   in Loop: Header=BB2_11 Depth=3
	s_add_i32 s54, s54, 1
	s_add_u32 s20, s20, s10
	s_addc_u32 s21, s21, s11
	s_cmp_eq_u32 s54, s51
	s_cbranch_scc1 .LBB2_7
.LBB2_11:                               ;   Parent Loop BB2_3 Depth=1
                                        ;     Parent Loop BB2_8 Depth=2
                                        ; =>    This Loop Header: Depth=3
                                        ;         Child Loop BB2_15 Depth 4
	s_and_not1_b32 vcc_lo, exec_lo, s19
	s_cbranch_vccnz .LBB2_10
; %bb.12:                               ;   in Loop: Header=BB2_11 Depth=3
	s_mul_i32 s0, s54, s23
	s_mov_b64 s[28:29], s[20:21]
	s_sub_i32 s0, s0, s27
	s_mov_b32 s56, s22
	v_add_nc_u32_e32 v1, s0, v16
	s_delay_alu instid0(VALU_DEP_1) | instskip(SKIP_2) | instid1(VALU_DEP_3)
	v_add_co_u32 v19, vcc_lo, v10, v1
	v_add_co_ci_u32_e32 v17, vcc_lo, 0, v11, vcc_lo
	v_cmp_gt_i32_e32 vcc_lo, 0, v1
	v_mul_lo_u32 v21, v19, s34
	v_cmp_le_i32_e64 s0, s48, v1
	s_delay_alu instid0(VALU_DEP_4) | instskip(SKIP_2) | instid1(VALU_DEP_4)
	v_mul_lo_u32 v20, v17, s49
	v_mad_u64_u32 v[17:18], null, v19, s49, 0
	v_mov_b32_e32 v1, v9
	s_or_b32 s55, vcc_lo, s0
	s_delay_alu instid0(VALU_DEP_2) | instskip(NEXT) | instid1(VALU_DEP_1)
	v_add3_u32 v18, v18, v21, v20
	v_lshlrev_b64 v[17:18], 1, v[17:18]
	s_delay_alu instid0(VALU_DEP_1) | instskip(NEXT) | instid1(VALU_DEP_1)
	v_add_co_u32 v17, s1, s35, v17
	v_add_co_ci_u32_e64 v18, s1, s36, v18, s1
	s_branch .LBB2_15
.LBB2_13:                               ;   in Loop: Header=BB2_15 Depth=4
	s_or_b32 exec_lo, exec_lo, s1
	v_cvt_f64_f32_e32 v[21:22], v21
	s_delay_alu instid0(VALU_DEP_2) | instskip(NEXT) | instid1(VALU_DEP_1)
	v_cvt_f64_f32_e32 v[19:20], v20
	v_fma_f64 v[6:7], v[21:22], v[19:20], v[6:7]
.LBB2_14:                               ;   in Loop: Header=BB2_15 Depth=4
	s_or_b32 exec_lo, exec_lo, s57
	s_add_i32 s56, s56, -1
	v_add_nc_u32_e32 v1, s24, v1
	s_add_u32 s28, s28, 2
	s_addc_u32 s29, s29, 0
	s_cmp_eq_u32 s56, 0
	s_cbranch_scc1 .LBB2_10
.LBB2_15:                               ;   Parent Loop BB2_3 Depth=1
                                        ;     Parent Loop BB2_8 Depth=2
                                        ;       Parent Loop BB2_11 Depth=3
                                        ; =>      This Inner Loop Header: Depth=4
	v_cmp_gt_i32_e32 vcc_lo, 0, v1
	v_cmp_le_i32_e64 s0, s49, v1
	s_delay_alu instid0(VALU_DEP_1) | instskip(NEXT) | instid1(SALU_CYCLE_1)
	s_or_b32 s0, vcc_lo, s0
	s_or_b32 s0, s55, s0
	s_delay_alu instid0(SALU_CYCLE_1) | instskip(NEXT) | instid1(SALU_CYCLE_1)
	s_xor_b32 s0, s0, -1
	s_and_saveexec_b32 s57, s0
	s_cbranch_execz .LBB2_14
; %bb.16:                               ;   in Loop: Header=BB2_15 Depth=4
	v_lshlrev_b64 v[19:20], 1, v[1:2]
	s_delay_alu instid0(VALU_DEP_1) | instskip(NEXT) | instid1(VALU_DEP_2)
	v_add_co_u32 v19, vcc_lo, v17, v19
	v_add_co_ci_u32_e32 v20, vcc_lo, v18, v20, vcc_lo
	s_and_not1_b32 vcc_lo, exec_lo, s14
	global_load_u16 v22, v[19:20], off
	s_cbranch_vccnz .LBB2_18
; %bb.17:                               ;   in Loop: Header=BB2_15 Depth=4
	s_mov_b32 s1, 0
	s_delay_alu instid0(SALU_CYCLE_1)
	v_mov_b32_e32 v23, s1
	v_mov_b32_e32 v21, s1
	s_cbranch_execz .LBB2_19
	s_branch .LBB2_20
.LBB2_18:                               ;   in Loop: Header=BB2_15 Depth=4
                                        ; implicit-def: $sgpr1
	v_mov_b32_e32 v23, s1
	v_mov_b32_e32 v21, s1
.LBB2_19:                               ;   in Loop: Header=BB2_15 Depth=4
	global_load_u16 v19, v2, s[28:29]
	s_load_b32 s0, s[4:5], 0xc
	s_waitcnt vmcnt(1)
	v_lshrrev_b32_e32 v21, 5, v22
	s_waitcnt lgkmcnt(0)
	s_and_b32 s0, s0, 0xffff
	s_waitcnt vmcnt(0)
	v_lshrrev_b32_e32 v23, 5, v19
	v_mad_u64_u32 v[19:20], null, s15, s0, v[0:1]
	v_mul_lo_u32 v20, 0x7000149, v21
	s_delay_alu instid0(VALU_DEP_3) | instskip(NEXT) | instid1(VALU_DEP_3)
	v_mul_lo_u32 v21, 0x7000149, v23
	v_mul_lo_u32 v19, 0x3819f, v19
	s_delay_alu instid0(VALU_DEP_3) | instskip(NEXT) | instid1(VALU_DEP_3)
	v_xor_b32_e32 v20, s3, v20
	v_xor_b32_e32 v21, s3, v21
	s_delay_alu instid0(VALU_DEP_2) | instskip(NEXT) | instid1(VALU_DEP_2)
	v_xor3_b32 v23, v20, v19, 0x13371337
	v_xor3_b32 v21, 0x13371337, v21, v19
.LBB2_20:                               ;   in Loop: Header=BB2_15 Depth=4
	s_waitcnt vmcnt(0)
	v_and_b32_e32 v20, 0x7c00, v22
	v_mov_b32_e32 v19, 0x80
	s_delay_alu instid0(VALU_DEP_2)
	v_cmp_ne_u32_e32 vcc_lo, 0x7c00, v20
	v_mov_b32_e32 v20, 0x80
	s_and_saveexec_b32 s58, vcc_lo
	s_cbranch_execz .LBB2_28
; %bb.21:                               ;   in Loop: Header=BB2_15 Depth=4
	v_mov_b32_e32 v20, 0
	s_mov_b32 s59, exec_lo
	v_cmpx_ne_u16_e32 0, v22
	s_cbranch_execz .LBB2_27
; %bb.22:                               ;   in Loop: Header=BB2_15 Depth=4
	v_bfe_u32 v20, v22, 10, 5
	s_delay_alu instid0(VALU_DEP_1) | instskip(SKIP_1) | instid1(VALU_DEP_2)
	v_sub_nc_u32_e32 v24, 8, v20
	v_cmp_gt_u32_e32 vcc_lo, 9, v20
	v_dual_cndmask_b32 v24, 0, v24 :: v_dual_and_b32 v25, 0x3ff, v22
	v_cmp_eq_u32_e32 vcc_lo, 0, v20
	s_delay_alu instid0(VALU_DEP_2) | instskip(NEXT) | instid1(VALU_DEP_3)
	v_or_b32_e32 v26, 0x400, v25
	v_cndmask_b32_e64 v24, v24, 7, vcc_lo
	s_delay_alu instid0(VALU_DEP_1) | instskip(SKIP_3) | instid1(VALU_DEP_3)
	v_dual_cndmask_b32 v25, v26, v25 :: v_dual_add_nc_u32 v28, 6, v24
	v_max_i32_e32 v26, 0, v24
	v_lshl_add_u32 v27, 0x80, v24, -1
	v_cmp_lt_i32_e64 s0, 3, v24
	v_lshrrev_b32_e32 v26, v26, v25
	s_delay_alu instid0(VALU_DEP_3) | instskip(SKIP_1) | instid1(VALU_DEP_4)
	v_and_b32_e32 v25, v27, v25
	v_lshlrev_b32_e64 v27, v28, 1
	s_or_b32 s0, s0, s2
	s_delay_alu instid0(VALU_DEP_3) | instskip(SKIP_1) | instid1(VALU_DEP_3)
	v_bfe_u32 v28, v26, 7, 1
	v_cndmask_b32_e64 v23, v26, v23, s2
	v_cmp_ne_u32_e64 s1, v25, v27
	s_delay_alu instid0(VALU_DEP_3) | instskip(SKIP_1) | instid1(VALU_DEP_1)
	v_add3_u32 v25, v26, v28, -1
	v_add_nc_u32_e32 v20, -7, v20
	v_cndmask_b32_e64 v20, v20, -6, vcc_lo
	s_delay_alu instid0(VALU_DEP_4) | instskip(SKIP_4) | instid1(VALU_DEP_3)
	s_or_b32 vcc_lo, s0, s1
	s_mov_b32 s0, exec_lo
	v_cndmask_b32_e32 v23, v25, v23, vcc_lo
	v_lshrrev_b32_e32 v25, 10, v26
	v_add_nc_u32_e32 v24, v24, v20
	v_and_b32_e32 v20, 0x7f, v23
	s_delay_alu instid0(VALU_DEP_3) | instskip(NEXT) | instid1(VALU_DEP_2)
	v_xor_b32_e32 v25, 1, v25
	v_add_nc_u32_e32 v23, v20, v26
                                        ; implicit-def: $vgpr20
	s_delay_alu instid0(VALU_DEP_2)
	v_cmpx_ne_u32_e64 v24, v25
	s_xor_b32 s0, exec_lo, s0
; %bb.23:                               ;   in Loop: Header=BB2_15 Depth=4
	s_delay_alu instid0(VALU_DEP_2) | instskip(SKIP_2) | instid1(VALU_DEP_2)
	v_cmp_lt_u32_e32 vcc_lo, 0x7ff, v23
	v_sub_nc_u32_e32 v20, v24, v25
	v_cndmask_b32_e64 v24, 0, 1, vcc_lo
	v_add_co_ci_u32_e32 v20, vcc_lo, 0, v20, vcc_lo
	s_delay_alu instid0(VALU_DEP_2)
	v_lshrrev_b32_e32 v23, v24, v23
; %bb.24:                               ;   in Loop: Header=BB2_15 Depth=4
	s_and_not1_saveexec_b32 s0, s0
; %bb.25:                               ;   in Loop: Header=BB2_15 Depth=4
	s_delay_alu instid0(VALU_DEP_1)
	v_bfe_u32 v20, v23, 10, 1
; %bb.26:                               ;   in Loop: Header=BB2_15 Depth=4
	s_or_b32 exec_lo, exec_lo, s0
	v_lshrrev_b32_e32 v23, 7, v23
	s_delay_alu instid0(VALU_DEP_2) | instskip(SKIP_2) | instid1(VALU_DEP_2)
	v_cmp_gt_i32_e32 vcc_lo, 16, v20
	v_lshrrev_b32_e32 v22, 8, v22
	v_min_i32_e32 v24, 15, v20
	v_dual_cndmask_b32 v23, 7, v23 :: v_dual_and_b32 v22, 0x80, v22
	s_delay_alu instid0(VALU_DEP_2) | instskip(NEXT) | instid1(VALU_DEP_2)
	v_lshlrev_b32_e32 v24, 3, v24
	v_or_b32_e32 v20, v20, v23
	s_delay_alu instid0(VALU_DEP_1) | instskip(SKIP_1) | instid1(VALU_DEP_1)
	v_cmp_ne_u32_e32 vcc_lo, 0, v20
	v_and_b32_e32 v25, 7, v23
	v_or3_b32 v22, v24, v22, v25
	s_delay_alu instid0(VALU_DEP_1)
	v_cndmask_b32_e32 v20, 0, v22, vcc_lo
.LBB2_27:                               ;   in Loop: Header=BB2_15 Depth=4
	s_or_b32 exec_lo, exec_lo, s59
.LBB2_28:                               ;   in Loop: Header=BB2_15 Depth=4
	s_delay_alu instid0(SALU_CYCLE_1) | instskip(SKIP_4) | instid1(VALU_DEP_2)
	s_or_b32 exec_lo, exec_lo, s58
	global_load_u16 v22, v2, s[28:29]
	s_waitcnt vmcnt(0)
	v_and_b32_e32 v23, 0x7c00, v22
	v_readfirstlane_b32 s0, v22
	v_cmp_eq_u32_e32 vcc_lo, 0x7c00, v23
	s_cbranch_vccnz .LBB2_36
; %bb.29:                               ;   in Loop: Header=BB2_15 Depth=4
	s_delay_alu instid0(VALU_DEP_2)
	s_cmp_eq_u32 s0, 0
	s_cbranch_scc1 .LBB2_32
; %bb.30:                               ;   in Loop: Header=BB2_15 Depth=4
	s_bfe_u32 s1, s0, 0x5000a
	s_and_b32 s58, s0, 0x3ff
	s_sub_i32 s59, 8, s1
	s_cmp_lt_u32 s1, 9
	s_cselect_b32 s59, s59, 0
	s_or_b32 s60, s58, 0x400
	s_add_i32 s61, s1, -7
	s_cmp_eq_u32 s1, 0
	s_cselect_b32 s1, 7, s59
	s_cselect_b32 s58, s58, s60
	s_cselect_b32 s59, -6, s61
	s_cmp_gt_i32 s1, 3
	s_cselect_b32 s60, -1, 0
	s_lshl_b32 s61, 0x80, s1
	s_add_i32 s62, s1, 6
	s_add_i32 s61, s61, -1
	s_lshl_b32 s62, 1, s62
	s_and_b32 s61, s61, s58
	s_delay_alu instid0(SALU_CYCLE_1)
	s_cmp_lg_u32 s61, s62
	s_cselect_b32 s61, -1, 0
	s_max_i32 s62, s1, 0
	s_or_b32 s60, s60, s2
	s_lshr_b32 s62, s58, s62
	s_or_b32 vcc_lo, s60, s61
	s_bfe_u32 s58, s62, 0x10007
	v_cndmask_b32_e64 v19, s62, v21, s2
	s_add_i32 s58, s62, s58
	s_add_i32 s1, s1, s59
	s_add_i32 s58, s58, -1
	s_delay_alu instid0(VALU_DEP_1) | instid1(SALU_CYCLE_1)
	v_cndmask_b32_e32 v19, s58, v19, vcc_lo
	s_lshr_b32 s58, s62, 10
	s_delay_alu instid0(SALU_CYCLE_1) | instskip(NEXT) | instid1(VALU_DEP_1)
	s_xor_b32 s58, s58, 1
	v_and_b32_e32 v19, 0x7f, v19
	s_cmp_lg_u32 s1, s58
	s_delay_alu instid0(VALU_DEP_1)
	v_add_nc_u32_e32 v21, s62, v19
	s_cbranch_scc0 .LBB2_33
; %bb.31:                               ;   in Loop: Header=BB2_15 Depth=4
	s_delay_alu instid0(VALU_DEP_1) | instskip(SKIP_3) | instid1(VALU_DEP_2)
	v_cmp_lt_u32_e32 vcc_lo, 0x7ff, v21
	s_sub_i32 s1, s1, s58
	v_cndmask_b32_e64 v22, 0, 1, vcc_lo
	v_add_co_ci_u32_e64 v19, null, s1, 0, vcc_lo
	v_lshrrev_b32_e32 v22, v22, v21
	s_cbranch_execz .LBB2_34
	s_branch .LBB2_35
.LBB2_32:                               ;   in Loop: Header=BB2_15 Depth=4
	v_mov_b32_e32 v19, 0
	s_branch .LBB2_36
.LBB2_33:                               ;   in Loop: Header=BB2_15 Depth=4
                                        ; implicit-def: $vgpr22
                                        ; implicit-def: $vgpr19
.LBB2_34:                               ;   in Loop: Header=BB2_15 Depth=4
	s_delay_alu instid0(VALU_DEP_1)
	v_bfe_u32 v19, v21, 10, 1
	v_mov_b32_e32 v22, v21
.LBB2_35:                               ;   in Loop: Header=BB2_15 Depth=4
	s_delay_alu instid0(VALU_DEP_1) | instskip(NEXT) | instid1(VALU_DEP_3)
	v_lshrrev_b32_e32 v21, 7, v22
	v_cmp_gt_i32_e32 vcc_lo, 16, v19
	v_min_i32_e32 v22, 15, v19
	s_lshr_b32 s0, s0, 8
	s_delay_alu instid0(SALU_CYCLE_1) | instskip(NEXT) | instid1(VALU_DEP_1)
	s_and_b32 s0, s0, 0x80
	v_dual_cndmask_b32 v21, 7, v21 :: v_dual_lshlrev_b32 v22, 3, v22
	s_delay_alu instid0(VALU_DEP_1) | instskip(SKIP_1) | instid1(VALU_DEP_2)
	v_and_b32_e32 v23, 7, v21
	v_or_b32_e32 v19, v19, v21
	v_or3_b32 v21, v22, s0, v23
	s_delay_alu instid0(VALU_DEP_2) | instskip(NEXT) | instid1(VALU_DEP_2)
	v_cmp_ne_u32_e32 vcc_lo, 0, v19
	v_cndmask_b32_e32 v19, 0, v21, vcc_lo
.LBB2_36:                               ;   in Loop: Header=BB2_15 Depth=4
	v_and_b32_e32 v22, 0xff, v20
	s_mov_b32 s0, 0
	s_mov_b32 s58, exec_lo
                                        ; implicit-def: $sgpr1
	s_delay_alu instid0(VALU_DEP_1)
	v_cmpx_lt_i16_e32 0x7f, v22
	s_xor_b32 s58, exec_lo, s58
	s_cbranch_execnz .LBB2_43
; %bb.37:                               ;   in Loop: Header=BB2_15 Depth=4
	s_or_saveexec_b32 s58, s58
	v_mov_b32_e32 v21, s1
	s_xor_b32 exec_lo, exec_lo, s58
	s_cbranch_execnz .LBB2_46
.LBB2_38:                               ;   in Loop: Header=BB2_15 Depth=4
	s_or_b32 exec_lo, exec_lo, s58
	s_and_saveexec_b32 s1, s0
	s_cbranch_execz .LBB2_40
.LBB2_39:                               ;   in Loop: Header=BB2_15 Depth=4
	v_lshrrev_b16 v24, 3, v20
	s_delay_alu instid0(VALU_DEP_1) | instskip(NEXT) | instid1(VALU_DEP_1)
	v_and_b32_e32 v24, 15, v24
	v_cmp_eq_u32_e32 vcc_lo, 0, v24
	v_and_b32_e32 v21, 7, v20
	s_delay_alu instid0(VALU_DEP_1) | instskip(NEXT) | instid1(VALU_DEP_1)
	v_clz_i32_u32_e32 v22, v21
	v_subrev_nc_u32_e32 v23, 28, v22
	v_sub_nc_u32_e32 v22, 29, v22
	s_delay_alu instid0(VALU_DEP_1) | instskip(SKIP_1) | instid1(VALU_DEP_2)
	v_dual_cndmask_b32 v22, v24, v22 :: v_dual_lshlrev_b32 v23, v23, v20
	v_lshlrev_b32_e32 v20, 24, v20
	v_and_b32_e32 v23, 7, v23
	s_delay_alu instid0(VALU_DEP_3) | instskip(NEXT) | instid1(VALU_DEP_2)
	v_lshl_add_u32 v22, v22, 23, 0x3b800000
	v_dual_cndmask_b32 v21, v21, v23 :: v_dual_and_b32 v20, 0x80000000, v20
	s_delay_alu instid0(VALU_DEP_1) | instskip(NEXT) | instid1(VALU_DEP_1)
	v_lshlrev_b32_e32 v21, 20, v21
	v_or3_b32 v21, v20, v22, v21
.LBB2_40:                               ;   in Loop: Header=BB2_15 Depth=4
	s_or_b32 exec_lo, exec_lo, s1
	v_and_b32_e32 v22, 0xff, v19
	s_mov_b32 s0, 0
	s_mov_b32 s58, exec_lo
                                        ; implicit-def: $sgpr1
	s_delay_alu instid0(VALU_DEP_1)
	v_cmpx_lt_i16_e32 0x7f, v22
	s_xor_b32 s58, exec_lo, s58
	s_cbranch_execnz .LBB2_47
; %bb.41:                               ;   in Loop: Header=BB2_15 Depth=4
	s_or_saveexec_b32 s58, s58
	v_mov_b32_e32 v20, s1
	s_xor_b32 exec_lo, exec_lo, s58
	s_cbranch_execnz .LBB2_50
.LBB2_42:                               ;   in Loop: Header=BB2_15 Depth=4
	s_or_b32 exec_lo, exec_lo, s58
	s_and_saveexec_b32 s1, s0
	s_cbranch_execz .LBB2_13
	s_branch .LBB2_51
.LBB2_43:                               ;   in Loop: Header=BB2_15 Depth=4
	s_mov_b32 s0, -1
	s_mov_b32 s59, exec_lo
                                        ; implicit-def: $sgpr1
	v_cmpx_eq_u16_e32 0x80, v22
; %bb.44:                               ;   in Loop: Header=BB2_15 Depth=4
	s_mov_b32 s1, 0x7f800001
	s_xor_b32 s0, exec_lo, -1
; %bb.45:                               ;   in Loop: Header=BB2_15 Depth=4
	s_or_b32 exec_lo, exec_lo, s59
	s_delay_alu instid0(SALU_CYCLE_1)
	s_and_b32 s0, s0, exec_lo
                                        ; implicit-def: $vgpr22
	s_or_saveexec_b32 s58, s58
	v_mov_b32_e32 v21, s1
	s_xor_b32 exec_lo, exec_lo, s58
	s_cbranch_execz .LBB2_38
.LBB2_46:                               ;   in Loop: Header=BB2_15 Depth=4
	v_cmp_ne_u16_e32 vcc_lo, 0, v22
	v_mov_b32_e32 v21, 0
	s_and_not1_b32 s0, s0, exec_lo
	s_and_b32 s1, vcc_lo, exec_lo
	s_delay_alu instid0(SALU_CYCLE_1)
	s_or_b32 s0, s0, s1
	s_or_b32 exec_lo, exec_lo, s58
	s_and_saveexec_b32 s1, s0
	s_cbranch_execnz .LBB2_39
	s_branch .LBB2_40
.LBB2_47:                               ;   in Loop: Header=BB2_15 Depth=4
	s_mov_b32 s0, -1
	s_mov_b32 s59, exec_lo
                                        ; implicit-def: $sgpr1
	v_cmpx_eq_u16_e32 0x80, v22
; %bb.48:                               ;   in Loop: Header=BB2_15 Depth=4
	s_mov_b32 s1, 0x7f800001
	s_xor_b32 s0, exec_lo, -1
; %bb.49:                               ;   in Loop: Header=BB2_15 Depth=4
	s_or_b32 exec_lo, exec_lo, s59
	s_delay_alu instid0(SALU_CYCLE_1)
	s_and_b32 s0, s0, exec_lo
                                        ; implicit-def: $vgpr22
	s_or_saveexec_b32 s58, s58
	v_mov_b32_e32 v20, s1
	s_xor_b32 exec_lo, exec_lo, s58
	s_cbranch_execz .LBB2_42
.LBB2_50:                               ;   in Loop: Header=BB2_15 Depth=4
	v_cmp_ne_u16_e32 vcc_lo, 0, v22
	v_mov_b32_e32 v20, 0
	s_and_not1_b32 s0, s0, exec_lo
	s_and_b32 s1, vcc_lo, exec_lo
	s_delay_alu instid0(SALU_CYCLE_1)
	s_or_b32 s0, s0, s1
	s_or_b32 exec_lo, exec_lo, s58
	s_and_saveexec_b32 s1, s0
	s_cbranch_execz .LBB2_13
.LBB2_51:                               ;   in Loop: Header=BB2_15 Depth=4
	v_and_b32_e32 v20, 7, v19
	v_lshrrev_b16 v24, 3, v19
	s_delay_alu instid0(VALU_DEP_2) | instskip(NEXT) | instid1(VALU_DEP_2)
	v_clz_i32_u32_e32 v22, v20
	v_and_b32_e32 v24, 15, v24
	s_delay_alu instid0(VALU_DEP_2) | instskip(SKIP_1) | instid1(VALU_DEP_3)
	v_subrev_nc_u32_e32 v23, 28, v22
	v_sub_nc_u32_e32 v22, 29, v22
	v_cmp_eq_u32_e32 vcc_lo, 0, v24
	s_delay_alu instid0(VALU_DEP_3) | instskip(NEXT) | instid1(VALU_DEP_3)
	v_lshlrev_b32_e32 v23, v23, v19
	v_dual_cndmask_b32 v22, v24, v22 :: v_dual_lshlrev_b32 v19, 24, v19
	s_delay_alu instid0(VALU_DEP_2) | instskip(NEXT) | instid1(VALU_DEP_2)
	v_and_b32_e32 v23, 7, v23
	v_and_b32_e32 v19, 0x80000000, v19
	s_delay_alu instid0(VALU_DEP_3) | instskip(NEXT) | instid1(VALU_DEP_3)
	v_lshl_add_u32 v22, v22, 23, 0x3b800000
	v_cndmask_b32_e32 v20, v20, v23, vcc_lo
	s_delay_alu instid0(VALU_DEP_1) | instskip(NEXT) | instid1(VALU_DEP_1)
	v_lshlrev_b32_e32 v20, 20, v20
	v_or3_b32 v20, v19, v22, v20
	s_branch .LBB2_13
.LBB2_52:
	s_nop 0
	s_sendmsg sendmsg(MSG_DEALLOC_VGPRS)
	s_endpgm
	.section	.rodata,"a",@progbits
	.p2align	6, 0x0
	.amdhsa_kernel naive_conv_nonpacked_wrw_nchw_half_half_half
		.amdhsa_group_segment_fixed_size 0
		.amdhsa_private_segment_fixed_size 0
		.amdhsa_kernarg_size 352
		.amdhsa_user_sgpr_count 15
		.amdhsa_user_sgpr_dispatch_ptr 0
		.amdhsa_user_sgpr_queue_ptr 0
		.amdhsa_user_sgpr_kernarg_segment_ptr 1
		.amdhsa_user_sgpr_dispatch_id 0
		.amdhsa_user_sgpr_private_segment_size 0
		.amdhsa_wavefront_size32 1
		.amdhsa_uses_dynamic_stack 0
		.amdhsa_enable_private_segment 0
		.amdhsa_system_sgpr_workgroup_id_x 1
		.amdhsa_system_sgpr_workgroup_id_y 0
		.amdhsa_system_sgpr_workgroup_id_z 0
		.amdhsa_system_sgpr_workgroup_info 0
		.amdhsa_system_vgpr_workitem_id 0
		.amdhsa_next_free_vgpr 29
		.amdhsa_next_free_sgpr 63
		.amdhsa_reserve_vcc 1
		.amdhsa_float_round_mode_32 0
		.amdhsa_float_round_mode_16_64 0
		.amdhsa_float_denorm_mode_32 3
		.amdhsa_float_denorm_mode_16_64 3
		.amdhsa_dx10_clamp 1
		.amdhsa_ieee_mode 1
		.amdhsa_fp16_overflow 0
		.amdhsa_workgroup_processor_mode 1
		.amdhsa_memory_ordered 1
		.amdhsa_forward_progress 0
		.amdhsa_shared_vgpr_count 0
		.amdhsa_exception_fp_ieee_invalid_op 0
		.amdhsa_exception_fp_denorm_src 0
		.amdhsa_exception_fp_ieee_div_zero 0
		.amdhsa_exception_fp_ieee_overflow 0
		.amdhsa_exception_fp_ieee_underflow 0
		.amdhsa_exception_fp_ieee_inexact 0
		.amdhsa_exception_int_div_zero 0
	.end_amdhsa_kernel
	.text
.Lfunc_end2:
	.size	naive_conv_nonpacked_wrw_nchw_half_half_half, .Lfunc_end2-naive_conv_nonpacked_wrw_nchw_half_half_half
                                        ; -- End function
	.section	.AMDGPU.csdata,"",@progbits
; Kernel info:
; codeLenInByte = 3420
; NumSgprs: 65
; NumVgprs: 29
; ScratchSize: 0
; MemoryBound: 0
; FloatMode: 240
; IeeeMode: 1
; LDSByteSize: 0 bytes/workgroup (compile time only)
; SGPRBlocks: 8
; VGPRBlocks: 3
; NumSGPRsForWavesPerEU: 65
; NumVGPRsForWavesPerEU: 29
; Occupancy: 16
; WaveLimiterHint : 0
; COMPUTE_PGM_RSRC2:SCRATCH_EN: 0
; COMPUTE_PGM_RSRC2:USER_SGPR: 15
; COMPUTE_PGM_RSRC2:TRAP_HANDLER: 0
; COMPUTE_PGM_RSRC2:TGID_X_EN: 1
; COMPUTE_PGM_RSRC2:TGID_Y_EN: 0
; COMPUTE_PGM_RSRC2:TGID_Z_EN: 0
; COMPUTE_PGM_RSRC2:TIDIG_COMP_CNT: 0
	.text
	.p2alignl 7, 3214868480
	.fill 96, 4, 3214868480
	.type	__hip_cuid_dae218446f26891,@object ; @__hip_cuid_dae218446f26891
	.section	.bss,"aw",@nobits
	.globl	__hip_cuid_dae218446f26891
__hip_cuid_dae218446f26891:
	.byte	0                               ; 0x0
	.size	__hip_cuid_dae218446f26891, 1

	.ident	"AMD clang version 19.0.0git (https://github.com/RadeonOpenCompute/llvm-project roc-6.4.0 25133 c7fe45cf4b819c5991fe208aaa96edf142730f1d)"
	.section	".note.GNU-stack","",@progbits
	.addrsig
	.addrsig_sym __hip_cuid_dae218446f26891
	.amdgpu_metadata
---
amdhsa.kernels:
  - .args:
      - .actual_access:  read_only
        .address_space:  global
        .offset:         0
        .size:           8
        .value_kind:     global_buffer
      - .actual_access:  read_only
        .address_space:  global
        .offset:         8
        .size:           8
        .value_kind:     global_buffer
      - .actual_access:  write_only
        .address_space:  global
        .offset:         16
        .size:           8
        .value_kind:     global_buffer
      - .offset:         24
        .size:           4
        .value_kind:     by_value
      - .offset:         28
        .size:           4
        .value_kind:     by_value
      - .offset:         32
        .size:           4
        .value_kind:     by_value
      - .offset:         36
        .size:           4
        .value_kind:     by_value
      - .offset:         40
        .size:           4
        .value_kind:     by_value
      - .offset:         44
        .size:           4
        .value_kind:     by_value
      - .offset:         48
        .size:           4
        .value_kind:     by_value
      - .offset:         52
        .size:           4
        .value_kind:     by_value
      - .offset:         56
        .size:           4
        .value_kind:     by_value
      - .offset:         60
        .size:           4
        .value_kind:     by_value
      - .offset:         64
        .size:           4
        .value_kind:     by_value
      - .offset:         68
        .size:           4
        .value_kind:     by_value
      - .offset:         72
        .size:           4
        .value_kind:     by_value
      - .offset:         76
        .size:           4
        .value_kind:     by_value
      - .offset:         80
        .size:           4
        .value_kind:     by_value
      - .offset:         84
        .size:           4
        .value_kind:     by_value
      - .offset:         88
        .size:           1
        .value_kind:     by_value
      - .offset:         92
        .size:           4
        .value_kind:     by_value
      - .offset:         96
        .size:           4
        .value_kind:     hidden_block_count_x
      - .offset:         100
        .size:           4
        .value_kind:     hidden_block_count_y
      - .offset:         104
        .size:           4
        .value_kind:     hidden_block_count_z
      - .offset:         108
        .size:           2
        .value_kind:     hidden_group_size_x
      - .offset:         110
        .size:           2
        .value_kind:     hidden_group_size_y
      - .offset:         112
        .size:           2
        .value_kind:     hidden_group_size_z
      - .offset:         114
        .size:           2
        .value_kind:     hidden_remainder_x
      - .offset:         116
        .size:           2
        .value_kind:     hidden_remainder_y
      - .offset:         118
        .size:           2
        .value_kind:     hidden_remainder_z
      - .offset:         136
        .size:           8
        .value_kind:     hidden_global_offset_x
      - .offset:         144
        .size:           8
        .value_kind:     hidden_global_offset_y
      - .offset:         152
        .size:           8
        .value_kind:     hidden_global_offset_z
      - .offset:         160
        .size:           2
        .value_kind:     hidden_grid_dims
    .group_segment_fixed_size: 0
    .kernarg_segment_align: 8
    .kernarg_segment_size: 352
    .language:       OpenCL C
    .language_version:
      - 2
      - 0
    .max_flat_workgroup_size: 1024
    .name:           naive_conv_nonpacked_fwd_nchw_half_half_half
    .private_segment_fixed_size: 0
    .sgpr_count:     68
    .sgpr_spill_count: 0
    .symbol:         naive_conv_nonpacked_fwd_nchw_half_half_half.kd
    .uniform_work_group_size: 1
    .uses_dynamic_stack: false
    .vgpr_count:     23
    .vgpr_spill_count: 0
    .wavefront_size: 32
    .workgroup_processor_mode: 1
  - .args:
      - .actual_access:  write_only
        .address_space:  global
        .offset:         0
        .size:           8
        .value_kind:     global_buffer
      - .actual_access:  read_only
        .address_space:  global
        .offset:         8
        .size:           8
        .value_kind:     global_buffer
      - .actual_access:  read_only
        .address_space:  global
        .offset:         16
        .size:           8
        .value_kind:     global_buffer
      - .offset:         24
        .size:           4
        .value_kind:     by_value
      - .offset:         28
        .size:           4
        .value_kind:     by_value
      - .offset:         32
        .size:           4
        .value_kind:     by_value
      - .offset:         36
        .size:           4
        .value_kind:     by_value
      - .offset:         40
        .size:           4
        .value_kind:     by_value
      - .offset:         44
        .size:           4
        .value_kind:     by_value
      - .offset:         48
        .size:           4
        .value_kind:     by_value
      - .offset:         52
        .size:           4
        .value_kind:     by_value
      - .offset:         56
        .size:           4
        .value_kind:     by_value
      - .offset:         60
        .size:           4
        .value_kind:     by_value
      - .offset:         64
        .size:           4
        .value_kind:     by_value
      - .offset:         68
        .size:           4
        .value_kind:     by_value
      - .offset:         72
        .size:           4
        .value_kind:     by_value
      - .offset:         76
        .size:           4
        .value_kind:     by_value
      - .offset:         80
        .size:           4
        .value_kind:     by_value
      - .offset:         84
        .size:           4
        .value_kind:     by_value
      - .offset:         88
        .size:           1
        .value_kind:     by_value
      - .offset:         92
        .size:           4
        .value_kind:     by_value
      - .offset:         96
        .size:           4
        .value_kind:     hidden_block_count_x
      - .offset:         100
        .size:           4
        .value_kind:     hidden_block_count_y
      - .offset:         104
        .size:           4
        .value_kind:     hidden_block_count_z
      - .offset:         108
        .size:           2
        .value_kind:     hidden_group_size_x
      - .offset:         110
        .size:           2
        .value_kind:     hidden_group_size_y
      - .offset:         112
        .size:           2
        .value_kind:     hidden_group_size_z
      - .offset:         114
        .size:           2
        .value_kind:     hidden_remainder_x
      - .offset:         116
        .size:           2
        .value_kind:     hidden_remainder_y
      - .offset:         118
        .size:           2
        .value_kind:     hidden_remainder_z
      - .offset:         136
        .size:           8
        .value_kind:     hidden_global_offset_x
      - .offset:         144
        .size:           8
        .value_kind:     hidden_global_offset_y
      - .offset:         152
        .size:           8
        .value_kind:     hidden_global_offset_z
      - .offset:         160
        .size:           2
        .value_kind:     hidden_grid_dims
    .group_segment_fixed_size: 0
    .kernarg_segment_align: 8
    .kernarg_segment_size: 352
    .language:       OpenCL C
    .language_version:
      - 2
      - 0
    .max_flat_workgroup_size: 1024
    .name:           naive_conv_nonpacked_bwd_nchw_half_half_half
    .private_segment_fixed_size: 0
    .sgpr_count:     61
    .sgpr_spill_count: 0
    .symbol:         naive_conv_nonpacked_bwd_nchw_half_half_half.kd
    .uniform_work_group_size: 1
    .uses_dynamic_stack: false
    .vgpr_count:     26
    .vgpr_spill_count: 0
    .wavefront_size: 32
    .workgroup_processor_mode: 1
  - .args:
      - .actual_access:  read_only
        .address_space:  global
        .offset:         0
        .size:           8
        .value_kind:     global_buffer
      - .actual_access:  write_only
        .address_space:  global
        .offset:         8
        .size:           8
        .value_kind:     global_buffer
      - .actual_access:  read_only
        .address_space:  global
        .offset:         16
        .size:           8
        .value_kind:     global_buffer
      - .offset:         24
        .size:           4
        .value_kind:     by_value
      - .offset:         28
        .size:           4
        .value_kind:     by_value
      - .offset:         32
        .size:           4
        .value_kind:     by_value
      - .offset:         36
        .size:           4
        .value_kind:     by_value
      - .offset:         40
        .size:           4
        .value_kind:     by_value
      - .offset:         44
        .size:           4
        .value_kind:     by_value
      - .offset:         48
        .size:           4
        .value_kind:     by_value
      - .offset:         52
        .size:           4
        .value_kind:     by_value
      - .offset:         56
        .size:           4
        .value_kind:     by_value
      - .offset:         60
        .size:           4
        .value_kind:     by_value
      - .offset:         64
        .size:           4
        .value_kind:     by_value
      - .offset:         68
        .size:           4
        .value_kind:     by_value
      - .offset:         72
        .size:           4
        .value_kind:     by_value
      - .offset:         76
        .size:           4
        .value_kind:     by_value
      - .offset:         80
        .size:           4
        .value_kind:     by_value
      - .offset:         84
        .size:           4
        .value_kind:     by_value
      - .offset:         88
        .size:           1
        .value_kind:     by_value
      - .offset:         92
        .size:           4
        .value_kind:     by_value
      - .offset:         96
        .size:           4
        .value_kind:     hidden_block_count_x
      - .offset:         100
        .size:           4
        .value_kind:     hidden_block_count_y
      - .offset:         104
        .size:           4
        .value_kind:     hidden_block_count_z
      - .offset:         108
        .size:           2
        .value_kind:     hidden_group_size_x
      - .offset:         110
        .size:           2
        .value_kind:     hidden_group_size_y
      - .offset:         112
        .size:           2
        .value_kind:     hidden_group_size_z
      - .offset:         114
        .size:           2
        .value_kind:     hidden_remainder_x
      - .offset:         116
        .size:           2
        .value_kind:     hidden_remainder_y
      - .offset:         118
        .size:           2
        .value_kind:     hidden_remainder_z
      - .offset:         136
        .size:           8
        .value_kind:     hidden_global_offset_x
      - .offset:         144
        .size:           8
        .value_kind:     hidden_global_offset_y
      - .offset:         152
        .size:           8
        .value_kind:     hidden_global_offset_z
      - .offset:         160
        .size:           2
        .value_kind:     hidden_grid_dims
    .group_segment_fixed_size: 0
    .kernarg_segment_align: 8
    .kernarg_segment_size: 352
    .language:       OpenCL C
    .language_version:
      - 2
      - 0
    .max_flat_workgroup_size: 1024
    .name:           naive_conv_nonpacked_wrw_nchw_half_half_half
    .private_segment_fixed_size: 0
    .sgpr_count:     65
    .sgpr_spill_count: 0
    .symbol:         naive_conv_nonpacked_wrw_nchw_half_half_half.kd
    .uniform_work_group_size: 1
    .uses_dynamic_stack: false
    .vgpr_count:     29
    .vgpr_spill_count: 0
    .wavefront_size: 32
    .workgroup_processor_mode: 1
amdhsa.target:   amdgcn-amd-amdhsa--gfx1100
amdhsa.version:
  - 1
  - 2
...

	.end_amdgpu_metadata
